;; amdgpu-corpus repo=ROCm/rocFFT kind=compiled arch=gfx950 opt=O3
	.text
	.amdgcn_target "amdgcn-amd-amdhsa--gfx950"
	.amdhsa_code_object_version 6
	.protected	fft_rtc_fwd_len1092_factors_2_2_13_7_3_wgs_52_tpt_52_halfLds_dp_op_CI_CI_unitstride_sbrr_dirReg ; -- Begin function fft_rtc_fwd_len1092_factors_2_2_13_7_3_wgs_52_tpt_52_halfLds_dp_op_CI_CI_unitstride_sbrr_dirReg
	.globl	fft_rtc_fwd_len1092_factors_2_2_13_7_3_wgs_52_tpt_52_halfLds_dp_op_CI_CI_unitstride_sbrr_dirReg
	.p2align	8
	.type	fft_rtc_fwd_len1092_factors_2_2_13_7_3_wgs_52_tpt_52_halfLds_dp_op_CI_CI_unitstride_sbrr_dirReg,@function
fft_rtc_fwd_len1092_factors_2_2_13_7_3_wgs_52_tpt_52_halfLds_dp_op_CI_CI_unitstride_sbrr_dirReg: ; @fft_rtc_fwd_len1092_factors_2_2_13_7_3_wgs_52_tpt_52_halfLds_dp_op_CI_CI_unitstride_sbrr_dirReg
; %bb.0:
	s_load_dwordx4 s[4:7], s[0:1], 0x58
	s_load_dwordx4 s[8:11], s[0:1], 0x0
	;; [unrolled: 1-line block ×3, first 2 shown]
	v_mul_u32_u24_e32 v1, 0x4ed, v0
	v_add_u32_sdwa v6, s2, v1 dst_sel:DWORD dst_unused:UNUSED_PAD src0_sel:DWORD src1_sel:WORD_1
	v_mov_b32_e32 v2, 0
	s_waitcnt lgkmcnt(0)
	v_cmp_lt_u64_e64 s[2:3], s[10:11], 2
	v_mov_b32_e32 v7, v2
	s_and_b64 vcc, exec, s[2:3]
	v_mov_b64_e32 v[4:5], 0
	s_cbranch_vccnz .LBB0_8
; %bb.1:
	s_load_dwordx2 s[2:3], s[0:1], 0x10
	s_add_u32 s16, s14, 8
	s_addc_u32 s17, s15, 0
	s_add_u32 s18, s12, 8
	s_addc_u32 s19, s13, 0
	s_waitcnt lgkmcnt(0)
	s_add_u32 s20, s2, 8
	v_mov_b64_e32 v[4:5], 0
	s_addc_u32 s21, s3, 0
	s_mov_b64 s[22:23], 1
	v_mov_b64_e32 v[144:145], v[4:5]
.LBB0_2:                                ; =>This Inner Loop Header: Depth=1
	s_load_dwordx2 s[24:25], s[20:21], 0x0
                                        ; implicit-def: $vgpr146_vgpr147
	s_waitcnt lgkmcnt(0)
	v_or_b32_e32 v3, s25, v7
	v_cmp_ne_u64_e32 vcc, 0, v[2:3]
	s_and_saveexec_b64 s[2:3], vcc
	s_xor_b64 s[26:27], exec, s[2:3]
	s_cbranch_execz .LBB0_4
; %bb.3:                                ;   in Loop: Header=BB0_2 Depth=1
	v_cvt_f32_u32_e32 v1, s24
	v_cvt_f32_u32_e32 v3, s25
	s_sub_u32 s2, 0, s24
	s_subb_u32 s3, 0, s25
	v_fmac_f32_e32 v1, 0x4f800000, v3
	v_rcp_f32_e32 v1, v1
	s_nop 0
	v_mul_f32_e32 v1, 0x5f7ffffc, v1
	v_mul_f32_e32 v3, 0x2f800000, v1
	v_trunc_f32_e32 v3, v3
	v_fmac_f32_e32 v1, 0xcf800000, v3
	v_cvt_u32_f32_e32 v3, v3
	v_cvt_u32_f32_e32 v1, v1
	v_mul_lo_u32 v8, s2, v3
	v_mul_hi_u32 v10, s2, v1
	v_mul_lo_u32 v9, s3, v1
	v_add_u32_e32 v10, v10, v8
	v_mul_lo_u32 v12, s2, v1
	v_add_u32_e32 v13, v10, v9
	v_mul_hi_u32 v8, v1, v12
	v_mul_hi_u32 v11, v1, v13
	v_mul_lo_u32 v10, v1, v13
	v_mov_b32_e32 v9, v2
	v_lshl_add_u64 v[8:9], v[8:9], 0, v[10:11]
	v_mul_hi_u32 v11, v3, v12
	v_mul_lo_u32 v12, v3, v12
	v_add_co_u32_e32 v8, vcc, v8, v12
	v_mul_hi_u32 v10, v3, v13
	s_nop 0
	v_addc_co_u32_e32 v8, vcc, v9, v11, vcc
	v_mov_b32_e32 v9, v2
	s_nop 0
	v_addc_co_u32_e32 v11, vcc, 0, v10, vcc
	v_mul_lo_u32 v10, v3, v13
	v_lshl_add_u64 v[8:9], v[8:9], 0, v[10:11]
	v_add_co_u32_e32 v1, vcc, v1, v8
	v_mul_lo_u32 v10, s2, v1
	s_nop 0
	v_addc_co_u32_e32 v3, vcc, v3, v9, vcc
	v_mul_lo_u32 v8, s2, v3
	v_mul_hi_u32 v9, s2, v1
	v_add_u32_e32 v8, v9, v8
	v_mul_lo_u32 v9, s3, v1
	v_add_u32_e32 v12, v8, v9
	v_mul_hi_u32 v14, v3, v10
	v_mul_lo_u32 v15, v3, v10
	v_mul_hi_u32 v9, v1, v12
	v_mul_lo_u32 v8, v1, v12
	v_mul_hi_u32 v10, v1, v10
	v_mov_b32_e32 v11, v2
	v_lshl_add_u64 v[8:9], v[10:11], 0, v[8:9]
	v_add_co_u32_e32 v8, vcc, v8, v15
	v_mul_hi_u32 v13, v3, v12
	s_nop 0
	v_addc_co_u32_e32 v8, vcc, v9, v14, vcc
	v_mul_lo_u32 v10, v3, v12
	s_nop 0
	v_addc_co_u32_e32 v11, vcc, 0, v13, vcc
	v_mov_b32_e32 v9, v2
	v_lshl_add_u64 v[8:9], v[8:9], 0, v[10:11]
	v_add_co_u32_e32 v1, vcc, v1, v8
	v_mul_hi_u32 v10, v6, v1
	s_nop 0
	v_addc_co_u32_e32 v3, vcc, v3, v9, vcc
	v_mad_u64_u32 v[8:9], s[2:3], v6, v3, 0
	v_mov_b32_e32 v11, v2
	v_lshl_add_u64 v[8:9], v[10:11], 0, v[8:9]
	v_mad_u64_u32 v[12:13], s[2:3], v7, v1, 0
	v_add_co_u32_e32 v1, vcc, v8, v12
	v_mad_u64_u32 v[10:11], s[2:3], v7, v3, 0
	s_nop 0
	v_addc_co_u32_e32 v8, vcc, v9, v13, vcc
	v_mov_b32_e32 v9, v2
	s_nop 0
	v_addc_co_u32_e32 v11, vcc, 0, v11, vcc
	v_lshl_add_u64 v[8:9], v[8:9], 0, v[10:11]
	v_mul_lo_u32 v1, s25, v8
	v_mul_lo_u32 v3, s24, v9
	v_mad_u64_u32 v[10:11], s[2:3], s24, v8, 0
	v_add3_u32 v1, v11, v3, v1
	v_sub_u32_e32 v3, v7, v1
	v_mov_b32_e32 v11, s25
	v_sub_co_u32_e32 v14, vcc, v6, v10
	v_lshl_add_u64 v[12:13], v[8:9], 0, 1
	s_nop 0
	v_subb_co_u32_e64 v3, s[2:3], v3, v11, vcc
	v_subrev_co_u32_e64 v10, s[2:3], s24, v14
	v_subb_co_u32_e32 v1, vcc, v7, v1, vcc
	s_nop 0
	v_subbrev_co_u32_e64 v3, s[2:3], 0, v3, s[2:3]
	v_cmp_le_u32_e64 s[2:3], s25, v3
	v_cmp_le_u32_e32 vcc, s25, v1
	s_nop 0
	v_cndmask_b32_e64 v11, 0, -1, s[2:3]
	v_cmp_le_u32_e64 s[2:3], s24, v10
	s_nop 1
	v_cndmask_b32_e64 v10, 0, -1, s[2:3]
	v_cmp_eq_u32_e64 s[2:3], s25, v3
	s_nop 1
	v_cndmask_b32_e64 v3, v11, v10, s[2:3]
	v_lshl_add_u64 v[10:11], v[8:9], 0, 2
	v_cmp_ne_u32_e64 s[2:3], 0, v3
	s_nop 1
	v_cndmask_b32_e64 v3, v13, v11, s[2:3]
	v_cndmask_b32_e64 v11, 0, -1, vcc
	v_cmp_le_u32_e32 vcc, s24, v14
	s_nop 1
	v_cndmask_b32_e64 v13, 0, -1, vcc
	v_cmp_eq_u32_e32 vcc, s25, v1
	s_nop 1
	v_cndmask_b32_e32 v1, v11, v13, vcc
	v_cmp_ne_u32_e32 vcc, 0, v1
	v_cndmask_b32_e64 v1, v12, v10, s[2:3]
	s_nop 0
	v_cndmask_b32_e32 v147, v9, v3, vcc
	v_cndmask_b32_e32 v146, v8, v1, vcc
.LBB0_4:                                ;   in Loop: Header=BB0_2 Depth=1
	s_andn2_saveexec_b64 s[2:3], s[26:27]
	s_cbranch_execz .LBB0_6
; %bb.5:                                ;   in Loop: Header=BB0_2 Depth=1
	v_cvt_f32_u32_e32 v1, s24
	s_sub_i32 s26, 0, s24
	v_mov_b32_e32 v147, v2
	v_rcp_iflag_f32_e32 v1, v1
	s_nop 0
	v_mul_f32_e32 v1, 0x4f7ffffe, v1
	v_cvt_u32_f32_e32 v1, v1
	v_mul_lo_u32 v3, s26, v1
	v_mul_hi_u32 v3, v1, v3
	v_add_u32_e32 v1, v1, v3
	v_mul_hi_u32 v1, v6, v1
	v_mul_lo_u32 v3, v1, s24
	v_sub_u32_e32 v3, v6, v3
	v_add_u32_e32 v8, 1, v1
	v_subrev_u32_e32 v9, s24, v3
	v_cmp_le_u32_e32 vcc, s24, v3
	s_nop 1
	v_cndmask_b32_e32 v3, v3, v9, vcc
	v_cndmask_b32_e32 v1, v1, v8, vcc
	v_add_u32_e32 v8, 1, v1
	v_cmp_le_u32_e32 vcc, s24, v3
	s_nop 1
	v_cndmask_b32_e32 v146, v1, v8, vcc
.LBB0_6:                                ;   in Loop: Header=BB0_2 Depth=1
	s_or_b64 exec, exec, s[2:3]
	v_mad_u64_u32 v[8:9], s[2:3], v146, s24, 0
	s_load_dwordx2 s[2:3], s[18:19], 0x0
	v_mul_lo_u32 v1, v147, s24
	v_mul_lo_u32 v3, v146, s25
	s_load_dwordx2 s[24:25], s[16:17], 0x0
	s_add_u32 s22, s22, 1
	v_add3_u32 v1, v9, v3, v1
	v_sub_co_u32_e32 v3, vcc, v6, v8
	s_addc_u32 s23, s23, 0
	s_nop 0
	v_subb_co_u32_e32 v1, vcc, v7, v1, vcc
	s_add_u32 s16, s16, 8
	s_waitcnt lgkmcnt(0)
	v_mul_lo_u32 v6, s2, v1
	v_mul_lo_u32 v7, s3, v3
	v_mad_u64_u32 v[4:5], s[2:3], s2, v3, v[4:5]
	s_addc_u32 s17, s17, 0
	v_add3_u32 v5, v7, v5, v6
	v_mul_lo_u32 v1, s24, v1
	v_mul_lo_u32 v6, s25, v3
	v_mad_u64_u32 v[144:145], s[2:3], s24, v3, v[144:145]
	s_add_u32 s18, s18, 8
	v_add3_u32 v145, v6, v145, v1
	s_addc_u32 s19, s19, 0
	v_mov_b64_e32 v[6:7], s[10:11]
	s_add_u32 s20, s20, 8
	v_cmp_ge_u64_e32 vcc, s[22:23], v[6:7]
	s_addc_u32 s21, s21, 0
	s_cbranch_vccnz .LBB0_9
; %bb.7:                                ;   in Loop: Header=BB0_2 Depth=1
	v_mov_b64_e32 v[6:7], v[146:147]
	s_branch .LBB0_2
.LBB0_8:
	v_mov_b64_e32 v[144:145], v[4:5]
	v_mov_b64_e32 v[146:147], v[6:7]
.LBB0_9:
	s_load_dwordx2 s[2:3], s[0:1], 0x28
	s_lshl_b64 s[16:17], s[10:11], 3
	s_add_u32 s10, s14, s16
	s_addc_u32 s11, s15, s17
                                        ; implicit-def: $vgpr182
	s_waitcnt lgkmcnt(0)
	v_cmp_gt_u64_e64 s[0:1], s[2:3], v[146:147]
	v_cmp_le_u64_e32 vcc, s[2:3], v[146:147]
	s_and_saveexec_b64 s[2:3], vcc
	s_xor_b64 s[2:3], exec, s[2:3]
; %bb.10:
	s_mov_b32 s14, 0x4ec4ec5
	v_mul_hi_u32 v1, v0, s14
	v_mul_u32_u24_e32 v1, 52, v1
	v_sub_u32_e32 v182, v0, v1
                                        ; implicit-def: $vgpr0
                                        ; implicit-def: $vgpr4_vgpr5
; %bb.11:
	s_or_saveexec_b64 s[2:3], s[2:3]
	s_load_dwordx2 s[10:11], s[10:11], 0x0
                                        ; implicit-def: $vgpr68_vgpr69
                                        ; implicit-def: $vgpr62_vgpr63
                                        ; implicit-def: $vgpr46_vgpr47
                                        ; implicit-def: $vgpr38_vgpr39
                                        ; implicit-def: $vgpr50_vgpr51
                                        ; implicit-def: $vgpr26_vgpr27
                                        ; implicit-def: $vgpr42_vgpr43
                                        ; implicit-def: $vgpr34_vgpr35
                                        ; implicit-def: $vgpr30_vgpr31
                                        ; implicit-def: $vgpr22_vgpr23
                                        ; implicit-def: $vgpr58_vgpr59
                                        ; implicit-def: $vgpr18_vgpr19
                                        ; implicit-def: $vgpr14_vgpr15
                                        ; implicit-def: $vgpr86_vgpr87
                                        ; implicit-def: $vgpr10_vgpr11
                                        ; implicit-def: $vgpr90_vgpr91
                                        ; implicit-def: $vgpr6_vgpr7
                                        ; implicit-def: $vgpr94_vgpr95
                                        ; implicit-def: $vgpr2_vgpr3
                                        ; implicit-def: $vgpr98_vgpr99
                                        ; implicit-def: $vgpr106_vgpr107
                                        ; implicit-def: $vgpr102_vgpr103
	s_xor_b64 exec, exec, s[2:3]
	s_cbranch_execz .LBB0_15
; %bb.12:
	s_add_u32 s12, s12, s16
	s_addc_u32 s13, s13, s17
	s_load_dwordx2 s[12:13], s[12:13], 0x0
	s_mov_b32 s14, 0x4ec4ec5
                                        ; implicit-def: $vgpr66_vgpr67
	s_waitcnt lgkmcnt(0)
	v_mul_lo_u32 v1, s13, v146
	v_mul_lo_u32 v6, s12, v147
	v_mad_u64_u32 v[2:3], s[12:13], s12, v146, 0
	v_add3_u32 v3, v3, v6, v1
	v_mul_hi_u32 v1, v0, s14
	v_mul_u32_u24_e32 v1, 52, v1
	v_sub_u32_e32 v182, v0, v1
	v_lshl_add_u64 v[0:1], v[2:3], 4, s[4:5]
	v_lshl_add_u64 v[0:1], v[4:5], 4, v[0:1]
	v_lshlrev_b32_e32 v2, 4, v182
	v_mov_b32_e32 v3, 0
	v_lshl_add_u64 v[52:53], v[0:1], 0, v[2:3]
	s_movk_i32 s4, 0x2000
	v_add_co_u32_e32 v54, vcc, s4, v52
	s_movk_i32 s4, 0x1000
	s_nop 0
	v_addc_co_u32_e32 v55, vcc, 0, v53, vcc
	v_add_co_u32_e32 v60, vcc, s4, v52
	s_movk_i32 s4, 0x3000
	s_nop 0
	v_addc_co_u32_e32 v61, vcc, 0, v53, vcc
	v_add_co_u32_e32 v62, vcc, s4, v52
	global_load_dwordx4 v[0:3], v[54:55], off offset:1376
	global_load_dwordx4 v[4:7], v[54:55], off offset:2208
	;; [unrolled: 1-line block ×4, first 2 shown]
	v_addc_co_u32_e32 v63, vcc, 0, v53, vcc
	global_load_dwordx4 v[16:19], v[60:61], off offset:64
	global_load_dwordx4 v[20:23], v[60:61], off offset:896
	;; [unrolled: 1-line block ×10, first 2 shown]
	global_load_dwordx4 v[100:103], v[52:53], off
	global_load_dwordx4 v[96:99], v[52:53], off offset:832
	global_load_dwordx4 v[92:95], v[52:53], off offset:1664
	global_load_dwordx4 v[88:91], v[52:53], off offset:2496
	global_load_dwordx4 v[104:107], v[54:55], off offset:544
                                        ; kill: killed $vgpr62 killed $vgpr63
                                        ; kill: killed $vgpr60 killed $vgpr61
                                        ; kill: killed $vgpr54 killed $vgpr55
	global_load_dwordx4 v[84:87], v[52:53], off offset:3328
	v_cmp_gt_u32_e32 vcc, 26, v182
                                        ; implicit-def: $vgpr60_vgpr61
	s_and_saveexec_b64 s[4:5], vcc
	s_cbranch_execz .LBB0_14
; %bb.13:
	v_add_co_u32_e32 v54, vcc, 0x2000, v52
	s_nop 1
	v_addc_co_u32_e32 v55, vcc, 0, v53, vcc
	v_add_co_u32_e32 v52, vcc, 0x4000, v52
	s_nop 1
	v_addc_co_u32_e32 v53, vcc, 0, v53, vcc
	global_load_dwordx4 v[60:63], v[54:55], off offset:128
	global_load_dwordx4 v[66:69], v[52:53], off offset:672
.LBB0_14:
	s_or_b64 exec, exec, s[4:5]
.LBB0_15:
	s_or_b64 exec, exec, s[2:3]
	s_waitcnt vmcnt(1)
	v_add_f64 v[72:73], v[100:101], -v[104:105]
	v_fma_f64 v[70:71], v[100:101], 2.0, -v[72:73]
	v_lshl_add_u32 v52, v182, 4, 0
	ds_write_b128 v52, v[70:73]
	v_add_f64 v[72:73], v[96:97], -v[0:1]
	v_add_u32_e32 v151, 52, v182
	v_fma_f64 v[70:71], v[96:97], 2.0, -v[72:73]
	v_lshl_add_u32 v53, v151, 4, 0
	ds_write_b128 v53, v[70:73]
	v_add_f64 v[72:73], v[92:93], -v[4:5]
	v_add_u32_e32 v149, 0x68, v182
	;; [unrolled: 5-line block ×3, first 2 shown]
	v_fma_f64 v[70:71], v[88:89], 2.0, -v[72:73]
	v_lshl_add_u32 v88, v0, 4, 0
	ds_write_b128 v88, v[70:73]
	s_waitcnt vmcnt(0)
	v_add_f64 v[72:73], v[84:85], -v[12:13]
	v_add_f64 v[56:57], v[16:17], -v[56:57]
	v_add_u32_e32 v13, 0x104, v182
	v_fma_f64 v[54:55], v[16:17], 2.0, -v[56:57]
	v_lshl_add_u32 v93, v13, 4, 0
	ds_write_b128 v93, v[54:57]
	v_add_f64 v[56:57], v[20:21], -v[28:29]
	v_add_u32_e32 v4, 0x138, v182
	v_fma_f64 v[54:55], v[20:21], 2.0, -v[56:57]
	v_lshl_add_u32 v20, v4, 4, 0
	ds_write_b128 v20, v[54:57]
	v_add_f64 v[56:57], v[32:33], -v[40:41]
	v_add_u32_e32 v5, 0x16c, v182
	v_fma_f64 v[54:55], v[32:33], 2.0, -v[56:57]
	v_lshl_add_u32 v21, v5, 4, 0
	ds_write_b128 v21, v[54:57]
	v_add_f64 v[56:57], v[24:25], -v[48:49]
	v_add_u32_e32 v16, 0x1a0, v182
	v_fma_f64 v[54:55], v[24:25], 2.0, -v[56:57]
	v_lshl_add_u32 v24, v16, 4, 0
	ds_write_b128 v24, v[54:57]
	v_add_f64 v[56:57], v[36:37], -v[44:45]
	v_add_u32_e32 v17, 0x1d4, v182
	v_fma_f64 v[54:55], v[36:37], 2.0, -v[56:57]
	v_lshl_add_u32 v28, v17, 4, 0
	v_add_u32_e32 v1, 0xd0, v182
	ds_write_b128 v28, v[54:57]
	v_add_f64 v[56:57], v[60:61], -v[66:67]
	v_add_u32_e32 v12, 0x208, v182
	v_fma_f64 v[70:71], v[84:85], 2.0, -v[72:73]
	v_lshl_add_u32 v89, v1, 4, 0
	v_fma_f64 v[54:55], v[60:61], 2.0, -v[56:57]
	v_cmp_gt_u32_e64 s[2:3], 26, v182
	v_lshl_add_u32 v25, v12, 4, 0
	ds_write_b128 v89, v[70:73]
	s_and_saveexec_b64 s[4:5], s[2:3]
	s_cbranch_execz .LBB0_17
; %bb.16:
	ds_write_b128 v25, v[54:57]
.LBB0_17:
	s_or_b64 exec, exec, s[4:5]
	v_lshl_add_u32 v183, v182, 3, 0
	v_add_u32_e32 v8, 0x1000, v183
	s_waitcnt lgkmcnt(0)
	; wave barrier
	s_waitcnt lgkmcnt(0)
	ds_read2_b64 v[108:111], v183 offset1:52
	ds_read2_b64 v[82:85], v8 offset0:34 offset1:86
	ds_read2_b64 v[112:115], v183 offset0:104 offset1:156
	ds_read2_b64 v[78:81], v8 offset0:138 offset1:190
	v_add_u32_e32 v8, 0x400, v183
	ds_read2_b64 v[116:119], v8 offset0:80 offset1:132
	v_add_u32_e32 v8, 0x1400, v183
	ds_read2_b64 v[74:77], v8 offset0:114 offset1:166
	v_add_u32_e32 v8, 0x800, v183
	v_add_u32_e32 v9, 0x1800, v183
	ds_read2_b64 v[120:123], v8 offset0:56 offset1:108
	ds_read2_b64 v[70:73], v9 offset0:90 offset1:142
	;; [unrolled: 1-line block ×4, first 2 shown]
	s_and_saveexec_b64 s[4:5], s[2:3]
	s_cbranch_execz .LBB0_19
; %bb.18:
	ds_read_b64 v[54:55], v183 offset:4160
	ds_read_b64 v[56:57], v183 offset:8528
.LBB0_19:
	s_or_b64 exec, exec, s[4:5]
	v_add_f64 v[104:105], v[102:103], -v[106:107]
	v_add_f64 v[130:131], v[90:91], -v[10:11]
	;; [unrolled: 1-line block ×3, first 2 shown]
	v_fma_f64 v[102:103], v[102:103], 2.0, -v[104:105]
	v_add_f64 v[100:101], v[98:99], -v[2:3]
	v_add_f64 v[96:97], v[94:95], -v[6:7]
	;; [unrolled: 1-line block ×8, first 2 shown]
	v_fma_f64 v[8:9], v[62:63], 2.0, -v[10:11]
	v_fma_f64 v[98:99], v[98:99], 2.0, -v[100:101]
	;; [unrolled: 1-line block ×10, first 2 shown]
	s_waitcnt lgkmcnt(0)
	; wave barrier
	s_waitcnt lgkmcnt(0)
	ds_write_b128 v52, v[102:105]
	ds_write_b128 v53, v[98:101]
	;; [unrolled: 1-line block ×10, first 2 shown]
	s_and_saveexec_b64 s[4:5], s[2:3]
	s_cbranch_execz .LBB0_21
; %bb.20:
	ds_write_b128 v25, v[8:11]
.LBB0_21:
	s_or_b64 exec, exec, s[4:5]
	v_lshlrev_b32_e32 v156, 1, v0
	v_add_u32_e32 v0, 0x1000, v183
	v_add_u32_e32 v6, 0x1400, v183
	s_waitcnt lgkmcnt(0)
	; wave barrier
	s_waitcnt lgkmcnt(0)
	ds_read2_b64 v[94:97], v183 offset1:52
	ds_read2_b64 v[136:139], v0 offset0:34 offset1:86
	ds_read2_b64 v[90:93], v183 offset0:104 offset1:156
	ds_read2_b64 v[132:135], v0 offset0:138 offset1:190
	v_add_u32_e32 v0, 0x400, v183
	ds_read2_b64 v[128:131], v6 offset0:114 offset1:166
	v_add_u32_e32 v6, 0x800, v183
	v_add_u32_e32 v7, 0x1800, v183
	v_lshlrev_b32_e32 v158, 1, v1
	ds_read2_b64 v[0:3], v0 offset0:80 offset1:132
	ds_read2_b64 v[86:89], v6 offset0:56 offset1:108
	;; [unrolled: 1-line block ×5, first 2 shown]
	v_lshlrev_b32_e32 v150, 1, v182
	v_lshlrev_b32_e32 v152, 1, v151
	;; [unrolled: 1-line block ×8, first 2 shown]
	s_and_saveexec_b64 s[4:5], s[2:3]
	s_cbranch_execz .LBB0_23
; %bb.22:
	ds_read_b64 v[8:9], v183 offset:4160
	ds_read_b64 v[10:11], v183 offset:8528
.LBB0_23:
	s_or_b64 exec, exec, s[4:5]
	v_and_b32_e32 v58, 1, v182
	v_lshlrev_b32_e32 v7, 4, v58
	global_load_dwordx4 v[140:143], v7, s[8:9]
	s_movk_i32 s13, 0x3fc
	s_movk_i32 s14, 0x2fc
	;; [unrolled: 1-line block ×5, first 2 shown]
	v_and_or_b32 v16, v158, s13, v58
	v_and_or_b32 v17, v160, s14, v58
	;; [unrolled: 1-line block ×9, first 2 shown]
	v_lshl_add_u32 v155, v16, 3, 0
	v_lshl_add_u32 v157, v17, 3, 0
	;; [unrolled: 1-line block ×4, first 2 shown]
	s_movk_i32 s5, 0xfc
	v_lshl_add_u32 v59, v7, 3, 0
	v_lshl_add_u32 v107, v14, 3, 0
	;; [unrolled: 1-line block ×5, first 2 shown]
	v_and_or_b32 v13, v152, s5, v58
	v_lshl_add_u32 v106, v13, 3, 0
	s_waitcnt lgkmcnt(0)
	; wave barrier
	s_waitcnt vmcnt(0) lgkmcnt(0)
	v_mul_f64 v[4:5], v[136:137], v[142:143]
	v_mul_f64 v[16:17], v[134:135], v[142:143]
	;; [unrolled: 1-line block ×11, first 2 shown]
	v_fma_f64 v[4:5], v[82:83], v[140:141], -v[4:5]
	v_fma_f64 v[16:17], v[80:81], v[140:141], -v[16:17]
	;; [unrolled: 1-line block ×11, first 2 shown]
	v_add_f64 v[32:33], v[108:109], -v[4:5]
	v_add_f64 v[36:37], v[114:115], -v[16:17]
	v_add_f64 v[40:41], v[118:119], -v[20:21]
	v_add_f64 v[20:21], v[124:125], -v[26:27]
	v_add_f64 v[16:17], v[126:127], -v[28:29]
	v_add_f64 v[28:29], v[122:123], -v[24:25]
	v_add_f64 v[24:25], v[54:55], -v[30:31]
	v_add_f64 v[34:35], v[110:111], -v[6:7]
	v_add_f64 v[14:15], v[112:113], -v[14:15]
	v_add_f64 v[38:39], v[116:117], -v[18:19]
	v_add_f64 v[4:5], v[120:121], -v[22:23]
	v_fma_f64 v[26:27], v[108:109], 2.0, -v[32:33]
	v_fma_f64 v[22:23], v[126:127], 2.0, -v[16:17]
	v_fma_f64 v[30:31], v[124:125], 2.0, -v[20:21]
	v_fma_f64 v[6:7], v[122:123], 2.0, -v[28:29]
	v_fma_f64 v[18:19], v[54:55], 2.0, -v[24:25]
	v_lshlrev_b32_e32 v108, 1, v12
	v_fma_f64 v[42:43], v[110:111], 2.0, -v[34:35]
	v_fma_f64 v[44:45], v[112:113], 2.0, -v[14:15]
	;; [unrolled: 1-line block ×6, first 2 shown]
	ds_write2_b64 v59, v[26:27], v[32:33] offset1:2
	ds_write2_b64 v106, v[42:43], v[34:35] offset1:2
	;; [unrolled: 1-line block ×10, first 2 shown]
	s_and_saveexec_b64 s[4:5], s[2:3]
	s_cbranch_execz .LBB0_25
; %bb.24:
	s_movk_i32 s12, 0x47c
	v_and_or_b32 v12, v108, s12, v58
	v_lshl_add_u32 v12, v12, 3, 0
	ds_write2_b64 v12, v[18:19], v[24:25] offset1:2
.LBB0_25:
	s_or_b64 exec, exec, s[4:5]
	v_add_u32_e32 v27, 0xc00, v183
	s_waitcnt lgkmcnt(0)
	; wave barrier
	s_waitcnt lgkmcnt(0)
	ds_read2_b64 v[12:15], v183 offset1:84
	ds_read2_b64 v[52:55], v183 offset0:168 offset1:252
	v_add_u32_e32 v26, 0x800, v183
	ds_read2_b64 v[44:47], v27 offset0:120 offset1:204
	v_add_u32_e32 v27, 0x1000, v183
	v_add_u32_e32 v32, 0x1800, v183
	ds_read2_b64 v[48:51], v26 offset0:80 offset1:164
	ds_read2_b64 v[40:43], v27 offset0:160 offset1:244
	;; [unrolled: 1-line block ×3, first 2 shown]
	ds_read_b64 v[176:177], v183 offset:8064
	v_cmp_gt_u32_e32 vcc, 32, v182
                                        ; implicit-def: $vgpr174_vgpr175
                                        ; implicit-def: $vgpr34_vgpr35
	s_and_saveexec_b64 s[4:5], vcc
	s_cbranch_execz .LBB0_27
; %bb.26:
	v_add_u32_e32 v16, 0x400, v183
	v_add_u32_e32 v24, 0x1400, v183
	ds_read2_b64 v[4:7], v183 offset0:52 offset1:136
	ds_read2_b64 v[28:31], v16 offset0:92 offset1:176
	;; [unrolled: 1-line block ×6, first 2 shown]
	ds_read_b64 v[174:175], v183 offset:8480
.LBB0_27:
	s_or_b64 exec, exec, s[4:5]
	v_mul_f64 v[68:69], v[82:83], v[142:143]
	v_mul_f64 v[82:83], v[84:85], v[142:143]
	;; [unrolled: 1-line block ×4, first 2 shown]
	v_fmac_f64_e32 v[68:69], v[136:137], v[140:141]
	v_fmac_f64_e32 v[82:83], v[138:139], v[140:141]
	;; [unrolled: 1-line block ×3, first 2 shown]
	v_mul_f64 v[76:77], v[76:77], v[142:143]
	v_mul_f64 v[70:71], v[70:71], v[142:143]
	;; [unrolled: 1-line block ×3, first 2 shown]
	v_fmac_f64_e32 v[64:65], v[98:99], v[140:141]
	v_mul_f64 v[66:67], v[66:67], v[142:143]
	v_mul_f64 v[56:57], v[56:57], v[142:143]
	;; [unrolled: 1-line block ×4, first 2 shown]
	v_fmac_f64_e32 v[76:77], v[130:131], v[140:141]
	v_fmac_f64_e32 v[70:71], v[102:103], v[140:141]
	;; [unrolled: 1-line block ×5, first 2 shown]
	v_add_f64 v[10:11], v[94:95], -v[68:69]
	v_add_f64 v[82:83], v[96:97], -v[82:83]
	v_add_f64 v[74:75], v[0:1], -v[74:75]
	v_add_f64 v[64:65], v[60:61], -v[64:65]
	v_fmac_f64_e32 v[78:79], v[132:133], v[140:141]
	v_fmac_f64_e32 v[80:81], v[134:135], v[140:141]
	v_fma_f64 v[84:85], v[94:95], 2.0, -v[10:11]
	v_fma_f64 v[94:95], v[96:97], 2.0, -v[82:83]
	;; [unrolled: 1-line block ×3, first 2 shown]
	v_add_f64 v[76:77], v[2:3], -v[76:77]
	v_add_f64 v[0:1], v[86:87], -v[70:71]
	v_add_f64 v[68:69], v[88:89], -v[72:73]
	v_fma_f64 v[70:71], v[60:61], 2.0, -v[64:65]
	v_add_f64 v[60:61], v[62:63], -v[66:67]
	v_add_f64 v[56:57], v[8:9], -v[56:57]
	;; [unrolled: 1-line block ×4, first 2 shown]
	v_fma_f64 v[98:99], v[2:3], 2.0, -v[76:77]
	v_fma_f64 v[2:3], v[88:89], 2.0, -v[68:69]
	;; [unrolled: 1-line block ×7, first 2 shown]
	s_waitcnt lgkmcnt(0)
	; wave barrier
	s_waitcnt lgkmcnt(0)
	ds_write2_b64 v59, v[84:85], v[10:11] offset1:2
	ds_write2_b64 v106, v[94:95], v[82:83] offset1:2
	;; [unrolled: 1-line block ×10, first 2 shown]
	s_and_saveexec_b64 s[4:5], s[2:3]
	s_cbranch_execz .LBB0_29
; %bb.28:
	s_movk_i32 s2, 0x47c
	v_and_or_b32 v8, v108, s2, v58
	v_lshl_add_u32 v8, v8, 3, 0
	ds_write2_b64 v8, v[62:63], v[56:57] offset1:2
.LBB0_29:
	s_or_b64 exec, exec, s[4:5]
	v_add_u32_e32 v59, 0xc00, v183
	s_waitcnt lgkmcnt(0)
	; wave barrier
	s_waitcnt lgkmcnt(0)
	ds_read2_b64 v[8:11], v183 offset1:84
	ds_read2_b64 v[92:95], v183 offset0:168 offset1:252
	v_add_u32_e32 v58, 0x800, v183
	ds_read2_b64 v[84:87], v59 offset0:120 offset1:204
	v_add_u32_e32 v59, 0x1000, v183
	v_add_u32_e32 v72, 0x1800, v183
	ds_read2_b64 v[88:91], v58 offset0:80 offset1:164
	ds_read2_b64 v[80:83], v59 offset0:160 offset1:244
	;; [unrolled: 1-line block ×3, first 2 shown]
	ds_read_b64 v[180:181], v183 offset:8064
                                        ; implicit-def: $vgpr178_vgpr179
                                        ; implicit-def: $vgpr74_vgpr75
	s_and_saveexec_b64 s[2:3], vcc
	s_cbranch_execz .LBB0_31
; %bb.30:
	v_add_u32_e32 v56, 0x400, v183
	ds_read2_b64 v[0:3], v183 offset0:52 offset1:136
	ds_read2_b64 v[68:71], v56 offset0:92 offset1:176
	;; [unrolled: 1-line block ×4, first 2 shown]
	v_add_u32_e32 v56, 0x1400, v183
	ds_read2_b64 v[56:59], v56 offset0:84 offset1:168
	ds_read2_b64 v[72:75], v72 offset0:124 offset1:208
	ds_read_b64 v[178:179], v183 offset:8480
.LBB0_31:
	s_or_b64 exec, exec, s[2:3]
	v_and_b32_e32 v153, 3, v182
	v_mul_u32_u24_e32 v96, 12, v153
	v_lshlrev_b32_e32 v128, 4, v96
	global_load_dwordx4 v[108:111], v128, s[8:9] offset:48
	global_load_dwordx4 v[104:107], v128, s[8:9] offset:64
	;; [unrolled: 1-line block ×12, first 2 shown]
	s_mov_b32 s36, 0x4267c47c
	s_mov_b32 s18, 0x42a4c3d2
	;; [unrolled: 1-line block ×36, first 2 shown]
	s_waitcnt lgkmcnt(0)
	; wave barrier
	s_waitcnt vmcnt(11) lgkmcnt(0)
	v_mul_f64 v[162:163], v[52:53], v[110:111]
	s_waitcnt vmcnt(10)
	v_mul_f64 v[200:201], v[94:95], v[106:107]
	v_mul_f64 v[140:141], v[54:55], v[106:107]
	;; [unrolled: 1-line block ×4, first 2 shown]
	s_waitcnt vmcnt(9)
	v_mul_f64 v[226:227], v[2:3], v[102:103]
	s_waitcnt vmcnt(5)
	v_mul_f64 v[214:215], v[86:87], v[118:119]
	v_mul_f64 v[128:129], v[6:7], v[102:103]
	v_fmac_f64_e32 v[106:107], v[70:71], v[104:105]
	v_fma_f64 v[70:71], v[6:7], v[100:101], -v[226:227]
	v_mul_f64 v[6:7], v[62:63], v[118:119]
	v_mul_f64 v[170:171], v[92:93], v[110:111]
	;; [unrolled: 1-line block ×5, first 2 shown]
	v_fmac_f64_e32 v[162:163], v[92:93], v[108:109]
	v_fma_f64 v[92:93], v[30:31], v[104:105], -v[204:205]
	v_fma_f64 v[30:31], v[46:47], v[116:117], -v[214:215]
	;; [unrolled: 1-line block ×3, first 2 shown]
	s_waitcnt vmcnt(4)
	v_mul_f64 v[6:7], v[56:57], v[114:115]
	v_mul_f64 v[110:111], v[28:29], v[110:111]
	v_mul_f64 v[206:207], v[10:11], v[102:103]
	v_mul_f64 v[166:167], v[14:15], v[102:103]
	v_mul_f64 v[208:209], v[88:89], v[98:99]
	v_mul_f64 v[138:139], v[48:49], v[98:99]
	v_mul_f64 v[210:211], v[90:91], v[126:127]
	v_mul_f64 v[134:135], v[50:51], v[126:127]
	v_mul_f64 v[130:131], v[44:45], v[122:123]
	v_mul_f64 v[228:229], v[64:65], v[98:99]
	v_mul_f64 v[102:103], v[20:21], v[98:99]
	s_waitcnt vmcnt(0)
	v_mul_f64 v[172:173], v[176:177], v[198:199]
	v_mul_f64 v[230:231], v[66:67], v[126:127]
	;; [unrolled: 1-line block ×3, first 2 shown]
	v_fma_f64 v[170:171], v[52:53], v[108:109], -v[170:171]
	v_fma_f64 v[126:127], v[54:55], v[104:105], -v[200:201]
	v_fmac_f64_e32 v[140:141], v[94:95], v[104:105]
	v_fma_f64 v[94:95], v[28:29], v[108:109], -v[202:203]
	v_fma_f64 v[28:29], v[44:45], v[120:121], -v[212:213]
	v_mul_f64 v[44:45], v[16:17], v[122:123]
	v_fma_f64 v[52:53], v[24:25], v[112:113], -v[6:7]
	v_mul_f64 v[54:55], v[24:25], v[114:115]
	v_mul_f64 v[6:7], v[58:59], v[186:187]
	;; [unrolled: 1-line block ×5, first 2 shown]
	v_fmac_f64_e32 v[166:167], v[10:11], v[100:101]
	v_fmac_f64_e32 v[172:173], v[180:181], v[196:197]
	;; [unrolled: 1-line block ×4, first 2 shown]
	v_fma_f64 v[56:57], v[26:27], v[184:185], -v[6:7]
	v_mul_f64 v[60:61], v[26:27], v[186:187]
	v_mul_f64 v[6:7], v[72:73], v[190:191]
	;; [unrolled: 1-line block ×4, first 2 shown]
	v_fmac_f64_e32 v[130:131], v[84:85], v[120:121]
	v_fma_f64 v[84:85], v[42:43], v[184:185], -v[218:219]
	v_fma_f64 v[14:15], v[14:15], v[100:101], -v[206:207]
	v_fmac_f64_e32 v[128:129], v[2:3], v[100:101]
	v_fma_f64 v[2:3], v[176:177], v[196:197], -v[224:225]
	v_fma_f64 v[42:43], v[16:17], v[120:121], -v[232:233]
	v_fmac_f64_e32 v[60:61], v[58:59], v[184:185]
	v_fma_f64 v[58:59], v[32:33], v[188:189], -v[6:7]
	v_mul_f64 v[6:7], v[74:75], v[194:195]
	v_add_f64 v[16:17], v[166:167], -v[172:173]
	v_mul_f64 v[222:223], v[78:79], v[194:195]
	v_fmac_f64_e32 v[110:111], v[68:69], v[108:109]
	v_fma_f64 v[108:109], v[48:49], v[96:97], -v[208:209]
	v_fma_f64 v[104:105], v[50:51], v[124:125], -v[210:211]
	v_fmac_f64_e32 v[168:169], v[78:79], v[192:193]
	v_fmac_f64_e32 v[102:103], v[64:65], v[96:97]
	v_fma_f64 v[50:51], v[22:23], v[124:125], -v[230:231]
	v_fmac_f64_e32 v[98:99], v[66:67], v[124:125]
	v_mul_f64 v[48:49], v[18:19], v[118:119]
	v_fma_f64 v[64:65], v[34:35], v[192:193], -v[6:7]
	v_mul_f64 v[66:67], v[34:35], v[194:195]
	v_add_f64 v[10:11], v[14:15], v[2:3]
	v_mul_f64 v[18:19], v[16:17], s[36:37]
	v_mul_f64 v[22:23], v[16:17], s[18:19]
	;; [unrolled: 1-line block ×8, first 2 shown]
	v_fmac_f64_e32 v[142:143], v[82:83], v[184:185]
	v_fma_f64 v[82:83], v[10:11], s[28:29], -v[16:17]
	v_fmac_f64_e32 v[16:17], s[28:29], v[10:11]
	v_mul_f64 v[216:217], v[80:81], v[114:115]
	v_mul_f64 v[220:221], v[76:77], v[190:191]
	v_fmac_f64_e32 v[136:137], v[80:81], v[112:113]
	v_fma_f64 v[38:39], v[38:39], v[192:193], -v[222:223]
	v_fmac_f64_e32 v[164:165], v[76:77], v[188:189]
	v_fma_f64 v[68:69], v[20:21], v[96:97], -v[228:229]
	v_fmac_f64_e32 v[48:49], v[62:63], v[116:117]
	v_mul_f64 v[62:63], v[32:33], v[190:191]
	v_mul_f64 v[6:7], v[178:179], v[198:199]
	v_fma_f64 v[20:21], v[10:11], s[2:3], -v[18:19]
	v_fmac_f64_e32 v[18:19], s[2:3], v[10:11]
	v_fma_f64 v[24:25], v[10:11], s[4:5], -v[22:23]
	v_fmac_f64_e32 v[22:23], s[4:5], v[10:11]
	;; [unrolled: 2-line block ×5, first 2 shown]
	v_add_f64 v[10:11], v[12:13], v[16:17]
	v_add_f64 v[16:17], v[162:163], -v[168:169]
	v_fmac_f64_e32 v[132:133], v[86:87], v[116:117]
	v_fmac_f64_e32 v[62:63], v[72:73], v[188:189]
	v_fma_f64 v[72:73], v[174:175], v[196:197], -v[6:7]
	v_add_f64 v[6:7], v[12:13], v[14:15]
	v_add_f64 v[20:21], v[12:13], v[20:21]
	;; [unrolled: 1-line block ×13, first 2 shown]
	v_mul_f64 v[86:87], v[16:17], s[18:19]
	v_fmac_f64_e32 v[138:139], v[88:89], v[96:97]
	v_fma_f64 v[88:89], v[12:13], s[4:5], -v[86:87]
	v_fmac_f64_e32 v[86:87], s[4:5], v[12:13]
	v_add_f64 v[18:19], v[86:87], v[18:19]
	v_mul_f64 v[86:87], v[16:17], s[14:15]
	v_add_f64 v[20:21], v[88:89], v[20:21]
	v_fma_f64 v[88:89], v[12:13], s[16:17], -v[86:87]
	v_fmac_f64_e32 v[86:87], s[16:17], v[12:13]
	v_add_f64 v[22:23], v[86:87], v[22:23]
	v_mul_f64 v[86:87], v[16:17], s[24:25]
	v_add_f64 v[24:25], v[88:89], v[24:25]
	;; [unrolled: 5-line block ×4, first 2 shown]
	v_fma_f64 v[88:89], v[12:13], s[12:13], -v[86:87]
	v_fmac_f64_e32 v[86:87], s[12:13], v[12:13]
	v_mul_f64 v[16:17], v[16:17], s[34:35]
	v_add_f64 v[78:79], v[86:87], v[78:79]
	v_fma_f64 v[86:87], v[12:13], s[2:3], -v[16:17]
	v_fmac_f64_e32 v[16:17], s[2:3], v[12:13]
	v_fma_f64 v[36:37], v[36:37], v[188:189], -v[220:221]
	v_add_f64 v[10:11], v[16:17], v[10:11]
	v_add_f64 v[16:17], v[140:141], -v[164:165]
	v_add_f64 v[82:83], v[86:87], v[82:83]
	v_add_f64 v[12:13], v[126:127], v[36:37]
	v_mul_f64 v[86:87], v[16:17], s[26:27]
	v_add_f64 v[80:81], v[88:89], v[80:81]
	v_fma_f64 v[88:89], v[12:13], s[12:13], -v[86:87]
	v_fmac_f64_e32 v[86:87], s[12:13], v[12:13]
	v_add_f64 v[18:19], v[86:87], v[18:19]
	v_mul_f64 v[86:87], v[16:17], s[24:25]
	v_add_f64 v[20:21], v[88:89], v[20:21]
	v_fma_f64 v[88:89], v[12:13], s[28:29], -v[86:87]
	v_fmac_f64_e32 v[86:87], s[28:29], v[12:13]
	;; [unrolled: 5-line block ×5, first 2 shown]
	v_mul_f64 v[16:17], v[16:17], s[20:21]
	v_add_f64 v[78:79], v[86:87], v[78:79]
	v_fma_f64 v[86:87], v[12:13], s[22:23], -v[16:17]
	v_fmac_f64_e32 v[16:17], s[22:23], v[12:13]
	v_add_f64 v[10:11], v[16:17], v[10:11]
	v_add_f64 v[16:17], v[138:139], -v[142:143]
	v_add_f64 v[82:83], v[86:87], v[82:83]
	v_add_f64 v[12:13], v[108:109], v[84:85]
	v_mul_f64 v[86:87], v[16:17], s[14:15]
	v_add_f64 v[80:81], v[88:89], v[80:81]
	v_fma_f64 v[88:89], v[12:13], s[16:17], -v[86:87]
	v_fmac_f64_e32 v[86:87], s[16:17], v[12:13]
	v_add_f64 v[18:19], v[86:87], v[18:19]
	v_mul_f64 v[86:87], v[16:17], s[38:39]
	v_add_f64 v[20:21], v[88:89], v[20:21]
	v_fma_f64 v[88:89], v[12:13], s[22:23], -v[86:87]
	v_fmac_f64_e32 v[86:87], s[22:23], v[12:13]
	;; [unrolled: 5-line block ×5, first 2 shown]
	v_mul_f64 v[16:17], v[16:17], s[40:41]
	v_fmac_f64_e32 v[134:135], v[90:91], v[124:125]
	v_add_f64 v[78:79], v[86:87], v[78:79]
	v_fma_f64 v[86:87], v[12:13], s[4:5], -v[16:17]
	v_fmac_f64_e32 v[16:17], s[4:5], v[12:13]
	v_fma_f64 v[40:41], v[40:41], v[112:113], -v[216:217]
	v_add_f64 v[10:11], v[16:17], v[10:11]
	v_add_f64 v[16:17], v[134:135], -v[136:137]
	v_add_f64 v[82:83], v[86:87], v[82:83]
	v_add_f64 v[12:13], v[104:105], v[40:41]
	v_mul_f64 v[86:87], v[16:17], s[20:21]
	v_add_f64 v[80:81], v[88:89], v[80:81]
	v_fma_f64 v[88:89], v[12:13], s[22:23], -v[86:87]
	v_fmac_f64_e32 v[86:87], s[22:23], v[12:13]
	v_add_f64 v[18:19], v[86:87], v[18:19]
	v_mul_f64 v[86:87], v[16:17], s[30:31]
	v_add_f64 v[20:21], v[88:89], v[20:21]
	v_fma_f64 v[88:89], v[12:13], s[12:13], -v[86:87]
	v_fmac_f64_e32 v[86:87], s[12:13], v[12:13]
	;; [unrolled: 5-line block ×5, first 2 shown]
	v_mul_f64 v[16:17], v[16:17], s[14:15]
	v_add_f64 v[78:79], v[86:87], v[78:79]
	v_fma_f64 v[86:87], v[12:13], s[16:17], -v[16:17]
	v_fmac_f64_e32 v[16:17], s[16:17], v[12:13]
	v_add_f64 v[10:11], v[16:17], v[10:11]
	v_add_f64 v[16:17], v[130:131], -v[132:133]
	v_add_f64 v[82:83], v[86:87], v[82:83]
	v_add_f64 v[12:13], v[28:29], v[30:31]
	v_mul_f64 v[86:87], v[16:17], s[24:25]
	v_add_f64 v[80:81], v[88:89], v[80:81]
	v_fma_f64 v[88:89], v[12:13], s[28:29], -v[86:87]
	v_fmac_f64_e32 v[86:87], s[28:29], v[12:13]
	v_add_f64 v[18:19], v[86:87], v[18:19]
	v_mul_f64 v[86:87], v[16:17], s[34:35]
	v_add_f64 v[6:7], v[6:7], v[170:171]
	v_add_f64 v[20:21], v[88:89], v[20:21]
	v_fma_f64 v[88:89], v[12:13], s[2:3], -v[86:87]
	v_fmac_f64_e32 v[86:87], s[2:3], v[12:13]
	v_add_f64 v[6:7], v[6:7], v[126:127]
	v_add_f64 v[22:23], v[86:87], v[22:23]
	v_mul_f64 v[86:87], v[16:17], s[20:21]
	v_add_f64 v[6:7], v[6:7], v[108:109]
	v_add_f64 v[24:25], v[88:89], v[24:25]
	v_fma_f64 v[88:89], v[12:13], s[22:23], -v[86:87]
	v_fmac_f64_e32 v[86:87], s[22:23], v[12:13]
	v_add_f64 v[6:7], v[6:7], v[104:105]
	;; [unrolled: 7-line block ×3, first 2 shown]
	v_add_f64 v[34:35], v[86:87], v[34:35]
	v_mul_f64 v[86:87], v[16:17], s[14:15]
	v_add_f64 v[6:7], v[6:7], v[40:41]
	v_add_f64 v[76:77], v[88:89], v[76:77]
	v_fma_f64 v[88:89], v[12:13], s[16:17], -v[86:87]
	v_fmac_f64_e32 v[86:87], s[16:17], v[12:13]
	v_mul_f64 v[16:17], v[16:17], s[30:31]
	v_add_f64 v[6:7], v[6:7], v[84:85]
	v_add_f64 v[86:87], v[86:87], v[78:79]
	v_fma_f64 v[78:79], v[12:13], s[12:13], -v[16:17]
	v_fmac_f64_e32 v[16:17], s[12:13], v[12:13]
	v_lshrrev_b32_e32 v12, 2, v182
	v_add_f64 v[6:7], v[6:7], v[36:37]
	v_mul_u32_u24_e32 v12, 52, v12
	v_add_f64 v[6:7], v[6:7], v[38:39]
	v_or_b32_e32 v12, v12, v153
	v_fmac_f64_e32 v[66:67], v[74:75], v[192:193]
	v_mul_f64 v[74:75], v[174:175], v[198:199]
	v_add_f64 v[6:7], v[6:7], v[2:3]
	v_add_f64 v[82:83], v[78:79], v[82:83]
	v_lshl_add_u32 v78, v12, 3, 0
	v_fmac_f64_e32 v[74:75], v[178:179], v[196:197]
	v_add_f64 v[80:81], v[88:89], v[80:81]
	v_add_f64 v[10:11], v[16:17], v[10:11]
	ds_write2_b64 v78, v[6:7], v[20:21] offset1:4
	ds_write2_b64 v78, v[24:25], v[32:33] offset0:8 offset1:12
	ds_write2_b64 v78, v[76:77], v[80:81] offset0:16 offset1:20
	;; [unrolled: 1-line block ×5, first 2 shown]
	ds_write_b64 v78, v[18:19] offset:384
	v_lshrrev_b32_e32 v86, 2, v151
	s_and_saveexec_b64 s[46:47], vcc
	s_cbranch_execz .LBB0_33
; %bb.32:
	v_add_f64 v[118:119], v[128:129], -v[74:75]
	v_add_f64 v[100:101], v[110:111], -v[66:67]
	v_add_f64 v[116:117], v[70:71], v[72:73]
	v_mul_f64 v[120:121], v[118:119], s[24:25]
	v_add_f64 v[82:83], v[106:107], -v[62:63]
	v_add_f64 v[96:97], v[94:95], v[64:65]
	v_mul_f64 v[112:113], v[100:101], s[34:35]
	v_fma_f64 v[122:123], s[28:29], v[116:117], v[120:121]
	v_add_f64 v[32:33], v[102:103], -v[60:61]
	v_add_f64 v[80:81], v[92:93], v[58:59]
	v_mul_f64 v[88:89], v[82:83], s[20:21]
	v_fma_f64 v[114:115], s[2:3], v[96:97], v[112:113]
	v_add_f64 v[122:123], v[4:5], v[122:123]
	v_add_f64 v[20:21], v[98:99], -v[54:55]
	v_add_f64 v[26:27], v[68:69], v[56:57]
	v_mul_f64 v[34:35], v[32:33], s[40:41]
	v_fma_f64 v[90:91], s[22:23], v[80:81], v[88:89]
	v_add_f64 v[114:115], v[114:115], v[122:123]
	;; [unrolled: 5-line block ×3, first 2 shown]
	v_add_f64 v[6:7], v[42:43], v[46:47]
	v_mul_f64 v[12:13], v[10:11], s[30:31]
	v_fma_f64 v[24:25], s[16:17], v[18:19], v[22:23]
	v_add_f64 v[76:77], v[76:77], v[90:91]
	v_fma_f64 v[16:17], s[12:13], v[6:7], v[12:13]
	v_add_f64 v[24:25], v[24:25], v[76:77]
	v_add_f64 v[16:17], v[16:17], v[24:25]
	v_fma_f64 v[24:25], v[26:27], s[4:5], -v[34:35]
	v_fma_f64 v[34:35], v[80:81], s[22:23], -v[88:89]
	v_fma_f64 v[88:89], v[116:117], s[28:29], -v[120:121]
	v_fma_f64 v[76:77], v[96:97], s[2:3], -v[112:113]
	v_add_f64 v[88:89], v[4:5], v[88:89]
	v_mul_f64 v[124:125], v[118:119], s[20:21]
	v_add_f64 v[76:77], v[76:77], v[88:89]
	v_mul_f64 v[120:121], v[100:101], s[30:31]
	v_fma_f64 v[174:175], s[22:23], v[116:117], v[124:125]
	v_add_f64 v[34:35], v[34:35], v[76:77]
	v_mul_f64 v[112:113], v[82:83], s[18:19]
	v_fma_f64 v[122:123], s[12:13], v[96:97], v[120:121]
	v_add_f64 v[174:175], v[4:5], v[174:175]
	v_fma_f64 v[22:23], v[18:19], s[16:17], -v[22:23]
	v_add_f64 v[24:25], v[24:25], v[34:35]
	v_mul_f64 v[88:89], v[32:33], s[42:43]
	v_fma_f64 v[114:115], s[4:5], v[80:81], v[112:113]
	v_add_f64 v[122:123], v[122:123], v[174:175]
	v_fma_f64 v[12:13], v[6:7], s[12:13], -v[12:13]
	v_add_f64 v[22:23], v[22:23], v[24:25]
	v_mul_f64 v[34:35], v[20:21], s[34:35]
	v_fma_f64 v[90:91], s[28:29], v[26:27], v[88:89]
	v_add_f64 v[114:115], v[114:115], v[122:123]
	v_add_f64 v[12:13], v[12:13], v[22:23]
	v_mul_f64 v[22:23], v[10:11], s[14:15]
	v_fma_f64 v[76:77], s[2:3], v[18:19], v[34:35]
	v_add_f64 v[90:91], v[90:91], v[114:115]
	v_fma_f64 v[24:25], s[16:17], v[6:7], v[22:23]
	v_add_f64 v[76:77], v[76:77], v[90:91]
	v_add_f64 v[24:25], v[24:25], v[76:77]
	v_fma_f64 v[76:77], v[26:27], s[28:29], -v[88:89]
	v_fma_f64 v[88:89], v[80:81], s[4:5], -v[112:113]
	v_fma_f64 v[112:113], v[116:117], s[22:23], -v[124:125]
	v_fma_f64 v[90:91], v[96:97], s[12:13], -v[120:121]
	v_add_f64 v[112:113], v[4:5], v[112:113]
	v_mul_f64 v[176:177], v[118:119], s[14:15]
	v_add_f64 v[90:91], v[90:91], v[112:113]
	v_mul_f64 v[124:125], v[100:101], s[38:39]
	v_fma_f64 v[178:179], s[16:17], v[116:117], v[176:177]
	v_add_f64 v[88:89], v[88:89], v[90:91]
	v_mul_f64 v[120:121], v[82:83], s[34:35]
	v_fma_f64 v[174:175], s[22:23], v[96:97], v[124:125]
	v_add_f64 v[178:179], v[4:5], v[178:179]
	v_fma_f64 v[34:35], v[18:19], s[2:3], -v[34:35]
	v_add_f64 v[76:77], v[76:77], v[88:89]
	v_mul_f64 v[112:113], v[32:33], s[26:27]
	v_fma_f64 v[122:123], s[2:3], v[80:81], v[120:121]
	v_add_f64 v[174:175], v[174:175], v[178:179]
	v_fma_f64 v[22:23], v[6:7], s[16:17], -v[22:23]
	v_add_f64 v[34:35], v[34:35], v[76:77]
	v_mul_f64 v[88:89], v[20:21], s[42:43]
	v_fma_f64 v[114:115], s[12:13], v[26:27], v[112:113]
	v_add_f64 v[122:123], v[122:123], v[174:175]
	;; [unrolled: 30-line block ×4, first 2 shown]
	v_add_f64 v[88:89], v[88:89], v[112:113]
	v_mul_f64 v[112:113], v[10:11], s[34:35]
	v_fma_f64 v[122:123], s[12:13], v[18:19], v[120:121]
	v_add_f64 v[174:175], v[174:175], v[178:179]
	v_fma_f64 v[114:115], s[2:3], v[6:7], v[112:113]
	v_add_f64 v[122:123], v[122:123], v[174:175]
	v_add_f64 v[114:115], v[114:115], v[122:123]
	v_fma_f64 v[122:123], v[26:27], s[22:23], -v[124:125]
	v_fma_f64 v[124:125], v[80:81], s[28:29], -v[176:177]
	;; [unrolled: 1-line block ×4, first 2 shown]
	v_add_f64 v[176:177], v[4:5], v[176:177]
	v_add_f64 v[174:175], v[174:175], v[176:177]
	;; [unrolled: 1-line block ×3, first 2 shown]
	v_fma_f64 v[120:121], v[18:19], s[12:13], -v[120:121]
	v_add_f64 v[122:123], v[122:123], v[124:125]
	v_fma_f64 v[112:113], v[6:7], s[2:3], -v[112:113]
	v_add_f64 v[120:121], v[120:121], v[122:123]
	v_mul_f64 v[10:11], v[10:11], s[24:25]
	v_mul_f64 v[20:21], v[20:21], s[20:21]
	v_mul_f64 v[32:33], v[32:33], s[14:15]
	v_mul_f64 v[118:119], v[118:119], s[36:37]
	v_add_f64 v[112:113], v[112:113], v[120:121]
	v_fma_f64 v[120:121], s[28:29], v[6:7], v[10:11]
	v_fma_f64 v[122:123], s[22:23], v[18:19], v[20:21]
	;; [unrolled: 1-line block ×4, first 2 shown]
	v_fma_f64 v[6:7], v[6:7], s[28:29], -v[10:11]
	v_fma_f64 v[10:11], v[18:19], s[22:23], -v[20:21]
	;; [unrolled: 1-line block ×4, first 2 shown]
	v_add_f64 v[178:179], v[4:5], v[178:179]
	v_add_f64 v[32:33], v[4:5], v[32:33]
	v_add_f64 v[4:5], v[4:5], v[70:71]
	v_add_f64 v[4:5], v[4:5], v[94:95]
	v_add_f64 v[4:5], v[4:5], v[92:93]
	v_mul_f64 v[100:101], v[100:101], s[18:19]
	v_add_f64 v[4:5], v[4:5], v[68:69]
	v_mul_f64 v[82:83], v[82:83], s[26:27]
	v_fma_f64 v[26:27], v[96:97], s[4:5], -v[100:101]
	v_add_f64 v[4:5], v[4:5], v[50:51]
	v_fma_f64 v[20:21], v[80:81], s[12:13], -v[82:83]
	v_add_f64 v[26:27], v[26:27], v[32:33]
	v_add_f64 v[4:5], v[4:5], v[42:43]
	;; [unrolled: 1-line block ×4, first 2 shown]
	v_fma_f64 v[176:177], s[4:5], v[96:97], v[100:101]
	v_add_f64 v[18:19], v[18:19], v[20:21]
	v_add_f64 v[4:5], v[4:5], v[52:53]
	v_fma_f64 v[174:175], s[12:13], v[80:81], v[82:83]
	v_add_f64 v[176:177], v[176:177], v[178:179]
	v_add_f64 v[10:11], v[10:11], v[18:19]
	;; [unrolled: 1-line block ×6, first 2 shown]
	v_mul_u32_u24_e32 v10, 52, v86
	v_add_f64 v[124:125], v[124:125], v[174:175]
	v_add_f64 v[4:5], v[4:5], v[64:65]
	v_or_b32_e32 v10, v10, v153
	v_add_f64 v[122:123], v[122:123], v[124:125]
	v_add_f64 v[4:5], v[4:5], v[72:73]
	v_lshl_add_u32 v10, v10, 3, 0
	v_add_f64 v[120:121], v[120:121], v[122:123]
	ds_write2_b64 v10, v[4:5], v[6:7] offset1:4
	ds_write2_b64 v10, v[112:113], v[88:89] offset0:8 offset1:12
	ds_write2_b64 v10, v[34:35], v[22:23] offset0:16 offset1:20
	;; [unrolled: 1-line block ×5, first 2 shown]
	ds_write_b64 v10, v[120:121] offset:384
.LBB0_33:
	s_or_b64 exec, exec, s[46:47]
	v_add_f64 v[4:5], v[8:9], v[166:167]
	v_add_f64 v[4:5], v[4:5], v[162:163]
	;; [unrolled: 1-line block ×11, first 2 shown]
	v_add_f64 v[2:3], v[14:15], -v[2:3]
	v_add_f64 v[88:89], v[4:5], v[172:173]
	v_add_f64 v[4:5], v[166:167], v[172:173]
	v_mul_f64 v[6:7], v[2:3], s[36:37]
	v_mul_f64 v[12:13], v[2:3], s[18:19]
	;; [unrolled: 1-line block ×6, first 2 shown]
	v_fma_f64 v[10:11], s[2:3], v[4:5], v[6:7]
	v_fma_f64 v[6:7], v[4:5], s[2:3], -v[6:7]
	v_fma_f64 v[14:15], s[4:5], v[4:5], v[12:13]
	v_fma_f64 v[12:13], v[4:5], s[4:5], -v[12:13]
	;; [unrolled: 2-line block ×6, first 2 shown]
	v_add_f64 v[10:11], v[8:9], v[10:11]
	v_add_f64 v[6:7], v[8:9], v[6:7]
	;; [unrolled: 1-line block ×12, first 2 shown]
	v_add_f64 v[8:9], v[170:171], -v[38:39]
	v_add_f64 v[4:5], v[162:163], v[168:169]
	v_mul_f64 v[34:35], v[8:9], s[18:19]
	v_fma_f64 v[38:39], s[4:5], v[4:5], v[34:35]
	v_fma_f64 v[34:35], v[4:5], s[4:5], -v[34:35]
	v_add_f64 v[6:7], v[34:35], v[6:7]
	v_mul_f64 v[34:35], v[8:9], s[14:15]
	v_add_f64 v[10:11], v[38:39], v[10:11]
	v_fma_f64 v[38:39], s[16:17], v[4:5], v[34:35]
	v_fma_f64 v[34:35], v[4:5], s[16:17], -v[34:35]
	v_add_f64 v[12:13], v[34:35], v[12:13]
	v_mul_f64 v[34:35], v[8:9], s[24:25]
	v_add_f64 v[14:15], v[38:39], v[14:15]
	v_fma_f64 v[38:39], s[28:29], v[4:5], v[34:35]
	v_fma_f64 v[34:35], v[4:5], s[28:29], -v[34:35]
	v_add_f64 v[16:17], v[34:35], v[16:17]
	v_mul_f64 v[34:35], v[8:9], s[38:39]
	v_add_f64 v[18:19], v[38:39], v[18:19]
	v_fma_f64 v[38:39], s[22:23], v[4:5], v[34:35]
	v_fma_f64 v[34:35], v[4:5], s[22:23], -v[34:35]
	v_add_f64 v[20:21], v[34:35], v[20:21]
	v_mul_f64 v[34:35], v[8:9], s[30:31]
	v_add_f64 v[22:23], v[38:39], v[22:23]
	v_fma_f64 v[38:39], s[12:13], v[4:5], v[34:35]
	v_fma_f64 v[34:35], v[4:5], s[12:13], -v[34:35]
	v_mul_f64 v[8:9], v[8:9], s[34:35]
	v_add_f64 v[24:25], v[34:35], v[24:25]
	v_fma_f64 v[34:35], s[2:3], v[4:5], v[8:9]
	v_fma_f64 v[4:5], v[4:5], s[2:3], -v[8:9]
	v_add_f64 v[8:9], v[126:127], -v[36:37]
	v_add_f64 v[32:33], v[34:35], v[32:33]
	v_add_f64 v[2:3], v[4:5], v[2:3]
	;; [unrolled: 1-line block ×3, first 2 shown]
	v_mul_f64 v[34:35], v[8:9], s[26:27]
	v_fma_f64 v[36:37], s[12:13], v[4:5], v[34:35]
	v_fma_f64 v[34:35], v[4:5], s[12:13], -v[34:35]
	v_add_f64 v[6:7], v[34:35], v[6:7]
	v_mul_f64 v[34:35], v[8:9], s[24:25]
	v_add_f64 v[10:11], v[36:37], v[10:11]
	v_fma_f64 v[36:37], s[28:29], v[4:5], v[34:35]
	v_fma_f64 v[34:35], v[4:5], s[28:29], -v[34:35]
	v_add_f64 v[12:13], v[34:35], v[12:13]
	v_mul_f64 v[34:35], v[8:9], s[44:45]
	v_add_f64 v[14:15], v[36:37], v[14:15]
	;; [unrolled: 5-line block ×4, first 2 shown]
	v_fma_f64 v[36:37], s[4:5], v[4:5], v[34:35]
	v_fma_f64 v[34:35], v[4:5], s[4:5], -v[34:35]
	v_mul_f64 v[8:9], v[8:9], s[20:21]
	v_add_f64 v[24:25], v[34:35], v[24:25]
	v_fma_f64 v[34:35], s[22:23], v[4:5], v[8:9]
	v_fma_f64 v[4:5], v[4:5], s[22:23], -v[8:9]
	v_add_f64 v[8:9], v[108:109], -v[84:85]
	v_add_f64 v[26:27], v[38:39], v[26:27]
	v_add_f64 v[32:33], v[34:35], v[32:33]
	;; [unrolled: 1-line block ×4, first 2 shown]
	v_mul_f64 v[34:35], v[8:9], s[14:15]
	v_add_f64 v[26:27], v[36:37], v[26:27]
	v_fma_f64 v[36:37], s[16:17], v[4:5], v[34:35]
	v_fma_f64 v[34:35], v[4:5], s[16:17], -v[34:35]
	v_add_f64 v[6:7], v[34:35], v[6:7]
	v_mul_f64 v[34:35], v[8:9], s[38:39]
	v_add_f64 v[10:11], v[36:37], v[10:11]
	v_fma_f64 v[36:37], s[22:23], v[4:5], v[34:35]
	v_fma_f64 v[34:35], v[4:5], s[22:23], -v[34:35]
	v_add_f64 v[12:13], v[34:35], v[12:13]
	;; [unrolled: 5-line block ×4, first 2 shown]
	v_mul_f64 v[34:35], v[8:9], s[42:43]
	v_add_f64 v[22:23], v[36:37], v[22:23]
	v_fma_f64 v[36:37], s[28:29], v[4:5], v[34:35]
	v_fma_f64 v[34:35], v[4:5], s[28:29], -v[34:35]
	v_mul_f64 v[8:9], v[8:9], s[40:41]
	v_add_f64 v[24:25], v[34:35], v[24:25]
	v_fma_f64 v[34:35], s[4:5], v[4:5], v[8:9]
	v_fma_f64 v[4:5], v[4:5], s[4:5], -v[8:9]
	v_add_f64 v[8:9], v[104:105], -v[40:41]
	v_add_f64 v[32:33], v[34:35], v[32:33]
	v_add_f64 v[2:3], v[4:5], v[2:3]
	;; [unrolled: 1-line block ×3, first 2 shown]
	v_mul_f64 v[34:35], v[8:9], s[20:21]
	v_add_f64 v[26:27], v[36:37], v[26:27]
	v_fma_f64 v[36:37], s[22:23], v[4:5], v[34:35]
	v_fma_f64 v[34:35], v[4:5], s[22:23], -v[34:35]
	v_add_f64 v[6:7], v[34:35], v[6:7]
	v_mul_f64 v[34:35], v[8:9], s[30:31]
	v_add_f64 v[10:11], v[36:37], v[10:11]
	v_fma_f64 v[36:37], s[12:13], v[4:5], v[34:35]
	v_fma_f64 v[34:35], v[4:5], s[12:13], -v[34:35]
	v_add_f64 v[12:13], v[34:35], v[12:13]
	;; [unrolled: 5-line block ×4, first 2 shown]
	v_mul_f64 v[34:35], v[8:9], s[34:35]
	v_add_f64 v[22:23], v[36:37], v[22:23]
	v_fma_f64 v[36:37], s[2:3], v[4:5], v[34:35]
	v_fma_f64 v[34:35], v[4:5], s[2:3], -v[34:35]
	v_mul_f64 v[8:9], v[8:9], s[14:15]
	v_add_f64 v[24:25], v[34:35], v[24:25]
	v_fma_f64 v[34:35], s[16:17], v[4:5], v[8:9]
	v_fma_f64 v[4:5], v[4:5], s[16:17], -v[8:9]
	v_add_f64 v[8:9], v[28:29], -v[30:31]
	v_add_f64 v[2:3], v[4:5], v[2:3]
	v_add_f64 v[4:5], v[130:131], v[132:133]
	v_mul_f64 v[28:29], v[8:9], s[24:25]
	v_fma_f64 v[30:31], s[28:29], v[4:5], v[28:29]
	v_add_f64 v[90:91], v[30:31], v[10:11]
	v_fma_f64 v[10:11], v[4:5], s[28:29], -v[28:29]
	v_add_f64 v[96:97], v[10:11], v[6:7]
	v_mul_f64 v[6:7], v[8:9], s[34:35]
	v_fma_f64 v[10:11], s[2:3], v[4:5], v[6:7]
	v_fma_f64 v[6:7], v[4:5], s[2:3], -v[6:7]
	v_add_f64 v[104:105], v[6:7], v[12:13]
	v_mul_f64 v[6:7], v[8:9], s[20:21]
	v_add_f64 v[100:101], v[10:11], v[14:15]
	v_fma_f64 v[10:11], s[22:23], v[4:5], v[6:7]
	v_fma_f64 v[6:7], v[4:5], s[22:23], -v[6:7]
	v_add_f64 v[112:113], v[6:7], v[16:17]
	v_mul_f64 v[6:7], v[8:9], s[40:41]
	v_add_f64 v[108:109], v[10:11], v[18:19]
	;; [unrolled: 5-line block ×4, first 2 shown]
	v_add_f64 v[32:33], v[34:35], v[32:33]
	v_fma_f64 v[8:9], s[12:13], v[4:5], v[6:7]
	v_fma_f64 v[4:5], v[4:5], s[12:13], -v[6:7]
	v_add_u32_e32 v80, 0x800, v183
	v_add_u32_e32 v81, 0x1000, v183
	;; [unrolled: 1-line block ×5, first 2 shown]
	v_add_f64 v[118:119], v[10:11], v[26:27]
	v_add_f64 v[122:123], v[8:9], v[32:33]
	;; [unrolled: 1-line block ×3, first 2 shown]
	s_waitcnt lgkmcnt(0)
	; wave barrier
	s_waitcnt lgkmcnt(0)
	ds_read2_b64 v[6:9], v183 offset1:52
	ds_read2_b64 v[2:5], v183 offset0:104 offset1:156
	ds_read2_b64 v[38:41], v80 offset0:56 offset1:108
	;; [unrolled: 1-line block ×9, first 2 shown]
	ds_read_b64 v[76:77], v183 offset:8320
	s_waitcnt lgkmcnt(0)
	; wave barrier
	s_waitcnt lgkmcnt(0)
	ds_write2_b64 v78, v[88:89], v[90:91] offset1:4
	ds_write2_b64 v78, v[100:101], v[108:109] offset0:8 offset1:12
	ds_write2_b64 v78, v[114:115], v[118:119] offset0:16 offset1:20
	ds_write2_b64 v78, v[122:123], v[124:125] offset0:24 offset1:28
	ds_write2_b64 v78, v[120:121], v[116:117] offset0:32 offset1:36
	ds_write2_b64 v78, v[112:113], v[104:105] offset0:40 offset1:44
	ds_write_b64 v78, v[96:97] offset:384
	s_and_saveexec_b64 s[2:3], vcc
	s_cbranch_execz .LBB0_35
; %bb.34:
	v_add_f64 v[78:79], v[0:1], v[128:129]
	v_add_f64 v[78:79], v[78:79], v[110:111]
	;; [unrolled: 1-line block ×10, first 2 shown]
	s_mov_b32 s22, 0x42a4c3d2
	s_mov_b32 s34, 0x66966769
	;; [unrolled: 1-line block ×5, first 2 shown]
	v_add_f64 v[78:79], v[78:79], v[66:67]
	v_add_f64 v[70:71], v[70:71], -v[72:73]
	s_mov_b32 s5, 0xbfddbe06
	s_mov_b32 s4, 0x4267c47c
	;; [unrolled: 1-line block ×13, first 2 shown]
	v_add_f64 v[78:79], v[78:79], v[74:75]
	v_add_f64 v[74:75], v[128:129], v[74:75]
	v_mul_f64 v[72:73], v[70:71], s[4:5]
	s_mov_b32 s13, 0x3fec55a7
	v_mul_f64 v[90:91], v[70:71], s[22:23]
	s_mov_b32 s15, 0x3fe22d96
	;; [unrolled: 2-line block ×6, first 2 shown]
	v_fma_f64 v[88:89], s[12:13], v[74:75], v[72:73]
	v_fma_f64 v[72:73], v[74:75], s[12:13], -v[72:73]
	v_fma_f64 v[96:97], s[14:15], v[74:75], v[90:91]
	v_fma_f64 v[90:91], v[74:75], s[14:15], -v[90:91]
	v_fma_f64 v[104:105], s[16:17], v[74:75], v[100:101]
	v_fma_f64 v[100:101], v[74:75], s[16:17], -v[100:101]
	v_fma_f64 v[112:113], s[20:21], v[74:75], v[108:109]
	v_fma_f64 v[108:109], v[74:75], s[20:21], -v[108:109]
	v_fma_f64 v[116:117], s[26:27], v[74:75], v[114:115]
	v_fma_f64 v[114:115], v[74:75], s[26:27], -v[114:115]
	v_fma_f64 v[118:119], s[30:31], v[74:75], v[70:71]
	v_fma_f64 v[70:71], v[74:75], s[30:31], -v[70:71]
	v_add_f64 v[64:65], v[94:95], -v[64:65]
	v_add_f64 v[88:89], v[0:1], v[88:89]
	v_add_f64 v[72:73], v[0:1], v[72:73]
	;; [unrolled: 1-line block ×13, first 2 shown]
	v_mul_f64 v[70:71], v[64:65], s[22:23]
	v_fma_f64 v[74:75], s[14:15], v[66:67], v[70:71]
	v_fma_f64 v[70:71], v[66:67], s[14:15], -v[70:71]
	v_add_f64 v[70:71], v[70:71], v[72:73]
	v_mul_f64 v[72:73], v[64:65], s[18:19]
	v_add_f64 v[74:75], v[74:75], v[88:89]
	v_fma_f64 v[88:89], s[20:21], v[66:67], v[72:73]
	v_fma_f64 v[72:73], v[66:67], s[20:21], -v[72:73]
	v_add_f64 v[72:73], v[72:73], v[90:91]
	v_mul_f64 v[90:91], v[64:65], s[28:29]
	v_fma_f64 v[94:95], s[30:31], v[66:67], v[90:91]
	s_mov_b32 s38, s24
	s_mov_b32 s37, 0x3fefc445
	;; [unrolled: 1-line block ×4, first 2 shown]
	v_add_f64 v[88:89], v[88:89], v[96:97]
	v_add_f64 v[94:95], v[94:95], v[104:105]
	v_mul_f64 v[96:97], v[64:65], s[38:39]
	v_mul_f64 v[104:105], v[64:65], s[36:37]
	;; [unrolled: 1-line block ×3, first 2 shown]
	v_fma_f64 v[90:91], v[66:67], s[30:31], -v[90:91]
	v_fma_f64 v[110:111], s[12:13], v[66:67], v[64:65]
	v_fma_f64 v[64:65], v[66:67], s[12:13], -v[64:65]
	v_add_f64 v[58:59], v[92:93], -v[58:59]
	v_add_f64 v[90:91], v[90:91], v[100:101]
	v_fma_f64 v[100:101], s[26:27], v[66:67], v[96:97]
	v_fma_f64 v[96:97], v[66:67], s[26:27], -v[96:97]
	v_add_f64 v[0:1], v[64:65], v[0:1]
	v_add_f64 v[62:63], v[106:107], v[62:63]
	v_mul_f64 v[64:65], v[58:59], s[34:35]
	v_add_f64 v[96:97], v[96:97], v[108:109]
	v_fma_f64 v[108:109], s[16:17], v[66:67], v[104:105]
	v_fma_f64 v[104:105], v[66:67], s[16:17], -v[104:105]
	v_fma_f64 v[66:67], s[16:17], v[62:63], v[64:65]
	v_fma_f64 v[64:65], v[62:63], s[16:17], -v[64:65]
	v_add_f64 v[64:65], v[64:65], v[70:71]
	v_mul_f64 v[70:71], v[58:59], s[28:29]
	v_add_f64 v[66:67], v[66:67], v[74:75]
	v_fma_f64 v[74:75], s[30:31], v[62:63], v[70:71]
	v_fma_f64 v[70:71], v[62:63], s[30:31], -v[70:71]
	s_mov_b32 s41, 0x3fedeba7
	s_mov_b32 s40, s18
	v_add_f64 v[70:71], v[70:71], v[72:73]
	v_mul_f64 v[72:73], v[58:59], s[40:41]
	v_add_f64 v[74:75], v[74:75], v[88:89]
	v_fma_f64 v[88:89], s[20:21], v[62:63], v[72:73]
	v_fma_f64 v[72:73], v[62:63], s[20:21], -v[72:73]
	v_add_f64 v[72:73], v[72:73], v[90:91]
	v_mul_f64 v[90:91], v[58:59], s[4:5]
	v_add_f64 v[100:101], v[100:101], v[112:113]
	v_add_f64 v[88:89], v[88:89], v[94:95]
	v_fma_f64 v[92:93], s[12:13], v[62:63], v[90:91]
	v_mul_f64 v[94:95], v[58:59], s[22:23]
	v_mul_f64 v[58:59], v[58:59], s[24:25]
	v_add_f64 v[92:93], v[92:93], v[100:101]
	v_fma_f64 v[100:101], s[26:27], v[62:63], v[58:59]
	v_fma_f64 v[58:59], v[62:63], s[26:27], -v[58:59]
	v_add_f64 v[56:57], v[68:69], -v[56:57]
	v_fma_f64 v[90:91], v[62:63], s[12:13], -v[90:91]
	v_add_f64 v[0:1], v[58:59], v[0:1]
	v_add_f64 v[58:59], v[102:103], v[60:61]
	v_mul_f64 v[60:61], v[56:57], s[18:19]
	v_add_f64 v[90:91], v[90:91], v[96:97]
	v_fma_f64 v[96:97], s[14:15], v[62:63], v[94:95]
	v_fma_f64 v[94:95], v[62:63], s[14:15], -v[94:95]
	v_fma_f64 v[62:63], s[20:21], v[58:59], v[60:61]
	v_fma_f64 v[60:61], v[58:59], s[20:21], -v[60:61]
	v_add_f64 v[60:61], v[60:61], v[64:65]
	v_mul_f64 v[64:65], v[56:57], s[38:39]
	v_add_f64 v[62:63], v[62:63], v[66:67]
	v_fma_f64 v[66:67], s[26:27], v[58:59], v[64:65]
	v_fma_f64 v[64:65], v[58:59], s[26:27], -v[64:65]
	v_mul_f64 v[68:69], v[56:57], s[4:5]
	v_add_f64 v[64:65], v[64:65], v[70:71]
	v_fma_f64 v[70:71], s[12:13], v[58:59], v[68:69]
	v_fma_f64 v[68:69], v[58:59], s[12:13], -v[68:69]
	v_add_f64 v[68:69], v[68:69], v[72:73]
	v_mul_f64 v[72:73], v[56:57], s[34:35]
	s_mov_b32 s35, 0x3fcea1e5
	s_mov_b32 s34, s28
	;; [unrolled: 1-line block ×4, first 2 shown]
	v_add_f64 v[66:67], v[66:67], v[74:75]
	v_add_f64 v[70:71], v[70:71], v[88:89]
	v_fma_f64 v[74:75], s[16:17], v[58:59], v[72:73]
	v_mul_f64 v[88:89], v[56:57], s[34:35]
	v_mul_f64 v[56:57], v[56:57], s[38:39]
	v_add_f64 v[50:51], v[50:51], -v[52:53]
	v_add_f64 v[74:75], v[74:75], v[92:93]
	v_fma_f64 v[72:73], v[58:59], s[16:17], -v[72:73]
	v_fma_f64 v[92:93], s[14:15], v[58:59], v[56:57]
	v_fma_f64 v[56:57], v[58:59], s[14:15], -v[56:57]
	v_add_f64 v[54:55], v[98:99], v[54:55]
	v_mul_f64 v[52:53], v[50:51], s[24:25]
	v_add_f64 v[72:73], v[72:73], v[90:91]
	v_fma_f64 v[90:91], s[30:31], v[58:59], v[88:89]
	v_fma_f64 v[88:89], v[58:59], s[30:31], -v[88:89]
	v_add_f64 v[0:1], v[56:57], v[0:1]
	v_fma_f64 v[56:57], s[26:27], v[54:55], v[52:53]
	v_fma_f64 v[52:53], v[54:55], s[26:27], -v[52:53]
	v_mul_f64 v[58:59], v[50:51], s[36:37]
	v_add_f64 v[56:57], v[56:57], v[62:63]
	v_add_f64 v[52:53], v[52:53], v[60:61]
	v_fma_f64 v[60:61], s[16:17], v[54:55], v[58:59]
	v_fma_f64 v[58:59], v[54:55], s[16:17], -v[58:59]
	v_mul_f64 v[62:63], v[50:51], s[22:23]
	v_add_f64 v[60:61], v[60:61], v[66:67]
	;; [unrolled: 5-line block ×3, first 2 shown]
	v_add_f64 v[62:63], v[62:63], v[68:69]
	v_fma_f64 v[68:69], s[30:31], v[54:55], v[66:67]
	v_mul_f64 v[70:71], v[50:51], s[4:5]
	v_mul_f64 v[50:51], v[50:51], s[18:19]
	v_add_f64 v[42:43], v[42:43], -v[46:47]
	v_add_f64 v[68:69], v[68:69], v[74:75]
	v_fma_f64 v[74:75], s[20:21], v[54:55], v[50:51]
	v_fma_f64 v[50:51], v[54:55], s[20:21], -v[50:51]
	v_add_f64 v[44:45], v[44:45], v[48:49]
	v_mul_f64 v[46:47], v[42:43], s[28:29]
	v_fma_f64 v[66:67], v[54:55], s[30:31], -v[66:67]
	v_add_f64 v[0:1], v[50:51], v[0:1]
	v_fma_f64 v[48:49], s[30:31], v[44:45], v[46:47]
	v_fma_f64 v[46:47], v[44:45], s[30:31], -v[46:47]
	v_mul_f64 v[50:51], v[42:43], s[4:5]
	v_add_f64 v[66:67], v[66:67], v[72:73]
	v_fma_f64 v[72:73], s[12:13], v[54:55], v[70:71]
	v_fma_f64 v[70:71], v[54:55], s[12:13], -v[70:71]
	v_add_f64 v[46:47], v[46:47], v[52:53]
	v_fma_f64 v[52:53], s[12:13], v[44:45], v[50:51]
	v_fma_f64 v[50:51], v[44:45], s[12:13], -v[50:51]
	v_mul_f64 v[54:55], v[42:43], s[24:25]
	v_add_f64 v[48:49], v[48:49], v[56:57]
	v_add_f64 v[50:51], v[50:51], v[58:59]
	v_fma_f64 v[56:57], s[26:27], v[44:45], v[54:55]
	v_fma_f64 v[54:55], v[44:45], s[26:27], -v[54:55]
	v_mul_f64 v[58:59], v[42:43], s[38:39]
	v_add_f64 v[52:53], v[52:53], v[60:61]
	v_add_f64 v[54:55], v[54:55], v[62:63]
	v_fma_f64 v[60:61], s[14:15], v[44:45], v[58:59]
	v_fma_f64 v[58:59], v[44:45], s[14:15], -v[58:59]
	v_mul_f64 v[62:63], v[42:43], s[18:19]
	v_mul_f64 v[42:43], v[42:43], s[36:37]
	v_add_f64 v[108:109], v[108:109], v[116:117]
	v_add_f64 v[104:105], v[104:105], v[114:115]
	;; [unrolled: 1-line block ×4, first 2 shown]
	v_fma_f64 v[66:67], s[16:17], v[44:45], v[42:43]
	v_fma_f64 v[42:43], v[44:45], s[16:17], -v[42:43]
	v_add_f64 v[96:97], v[96:97], v[108:109]
	v_add_f64 v[94:95], v[94:95], v[104:105]
	;; [unrolled: 1-line block ×4, first 2 shown]
	v_mul_u32_u24_e32 v42, 52, v86
	v_add_f64 v[90:91], v[90:91], v[96:97]
	v_add_f64 v[88:89], v[88:89], v[94:95]
	;; [unrolled: 1-line block ×3, first 2 shown]
	v_or_b32_e32 v42, v42, v153
	v_add_f64 v[72:73], v[72:73], v[90:91]
	v_add_f64 v[70:71], v[70:71], v[88:89]
	;; [unrolled: 1-line block ×4, first 2 shown]
	v_fma_f64 v[64:65], s[20:21], v[44:45], v[62:63]
	v_fma_f64 v[62:63], v[44:45], s[20:21], -v[62:63]
	v_lshl_add_u32 v42, v42, 3, 0
	v_add_f64 v[60:61], v[60:61], v[68:69]
	v_add_f64 v[64:65], v[64:65], v[72:73]
	;; [unrolled: 1-line block ×4, first 2 shown]
	ds_write2_b64 v42, v[78:79], v[48:49] offset1:4
	ds_write2_b64 v42, v[52:53], v[56:57] offset0:8 offset1:12
	ds_write2_b64 v42, v[60:61], v[64:65] offset0:16 offset1:20
	;; [unrolled: 1-line block ×5, first 2 shown]
	ds_write_b64 v42, v[46:47] offset:384
.LBB0_35:
	s_or_b64 exec, exec, s[2:3]
	v_mul_u32_u24_e32 v0, 6, v182
	v_lshlrev_b32_e32 v0, 4, v0
	s_movk_i32 s2, 0x4f
	s_waitcnt lgkmcnt(0)
	; wave barrier
	s_waitcnt lgkmcnt(0)
	global_load_dwordx4 v[50:53], v0, s[8:9] offset:800
	global_load_dwordx4 v[54:57], v0, s[8:9] offset:816
	;; [unrolled: 1-line block ×6, first 2 shown]
	v_mul_lo_u16_sdwa v0, v149, s2 dst_sel:DWORD dst_unused:UNUSED_PAD src0_sel:BYTE_0 src1_sel:DWORD
	v_lshrrev_b16_e32 v0, 12, v0
	v_mul_lo_u16_e32 v0, 52, v0
	v_sub_u16_e32 v0, v149, v0
	v_and_b32_e32 v85, 0xff, v0
	v_mul_u32_u24_e32 v0, 6, v85
	v_lshlrev_b32_e32 v0, 4, v0
	global_load_dwordx4 v[86:89], v0, s[8:9] offset:800
	global_load_dwordx4 v[90:93], v0, s[8:9] offset:816
	;; [unrolled: 1-line block ×6, first 2 shown]
	ds_read2_b64 v[46:49], v183 offset1:52
	ds_read2_b64 v[42:45], v183 offset0:104 offset1:156
	ds_read2_b64 v[110:113], v80 offset0:56 offset1:108
	;; [unrolled: 1-line block ×9, first 2 shown]
	ds_read_b64 v[0:1], v183 offset:8320
	s_mov_b32 s4, 0x37e14327
	s_mov_b32 s2, 0x36b3c0b5
	;; [unrolled: 1-line block ×20, first 2 shown]
	s_waitcnt lgkmcnt(0)
	; wave barrier
	s_waitcnt vmcnt(11) lgkmcnt(0)
	v_mul_f64 v[74:75], v[44:45], v[52:53]
	s_waitcnt vmcnt(10)
	v_mul_f64 v[162:163], v[38:39], v[56:57]
	v_mul_f64 v[78:79], v[4:5], v[52:53]
	;; [unrolled: 1-line block ×3, first 2 shown]
	s_waitcnt vmcnt(7)
	v_mul_f64 v[172:173], v[124:125], v[68:69]
	v_mul_f64 v[164:165], v[116:117], v[60:61]
	;; [unrolled: 1-line block ×7, first 2 shown]
	v_fmac_f64_e32 v[162:163], v[110:111], v[54:55]
	v_fma_f64 v[110:111], v[16:17], v[66:67], -v[172:173]
	s_waitcnt vmcnt(5)
	v_mul_f64 v[16:17], v[132:133], v[88:89]
	v_mul_f64 v[60:61], v[22:23], v[60:61]
	v_fma_f64 v[74:75], v[4:5], v[50:51], -v[74:75]
	v_fmac_f64_e32 v[78:79], v[44:45], v[50:51]
	v_fma_f64 v[44:45], v[20:21], v[58:59], -v[164:165]
	v_fmac_f64_e32 v[166:167], v[116:117], v[58:59]
	;; [unrolled: 2-line block ×3, first 2 shown]
	v_fma_f64 v[50:51], v[22:23], v[58:59], -v[186:187]
	s_waitcnt vmcnt(4)
	v_mul_f64 v[20:21], v[114:115], v[92:93]
	v_fma_f64 v[22:23], v[28:29], v[86:87], -v[16:17]
	s_waitcnt vmcnt(3)
	v_mul_f64 v[16:17], v[136:137], v[96:97]
	v_mul_f64 v[4:5], v[18:19], v[92:93]
	v_fma_f64 v[20:21], v[18:19], v[90:91], -v[20:21]
	v_fma_f64 v[16:17], v[24:25], v[94:95], -v[16:17]
	v_mul_f64 v[18:19], v[24:25], v[96:97]
	s_waitcnt vmcnt(2)
	v_mul_f64 v[24:25], v[122:123], v[100:101]
	v_mul_f64 v[168:169], v[118:119], v[64:65]
	;; [unrolled: 1-line block ×10, first 2 shown]
	v_fma_f64 v[26:27], v[14:15], v[98:99], -v[24:25]
	s_waitcnt vmcnt(1)
	v_mul_f64 v[24:25], v[140:141], v[104:105]
	v_mul_f64 v[68:69], v[10:11], v[68:69]
	;; [unrolled: 1-line block ×4, first 2 shown]
	v_fma_f64 v[38:39], v[38:39], v[54:55], -v[142:143]
	v_fma_f64 v[30:31], v[30:31], v[62:63], -v[168:169]
	v_fmac_f64_e32 v[170:171], v[118:119], v[62:63]
	v_fmac_f64_e32 v[174:175], v[124:125], v[66:67]
	v_fma_f64 v[34:35], v[34:35], v[70:71], -v[176:177]
	v_fmac_f64_e32 v[178:179], v[126:127], v[70:71]
	v_fma_f64 v[40:41], v[40:41], v[54:55], -v[184:185]
	;; [unrolled: 2-line block ×4, first 2 shown]
	v_mul_f64 v[10:11], v[28:29], v[88:89]
	v_fma_f64 v[28:29], v[12:13], v[102:103], -v[24:25]
	s_waitcnt vmcnt(0)
	v_mul_f64 v[24:25], v[0:1], v[108:109]
	v_mul_f64 v[62:63], v[76:77], v[108:109]
	v_fmac_f64_e32 v[60:61], v[134:135], v[58:59]
	v_fma_f64 v[36:37], v[36:37], v[70:71], -v[192:193]
	v_fmac_f64_e32 v[72:73], v[128:129], v[70:71]
	v_fma_f64 v[58:59], v[76:77], v[106:107], -v[24:25]
	v_fmac_f64_e32 v[62:63], v[0:1], v[106:107]
	v_add_f64 v[0:1], v[74:75], v[34:35]
	v_add_f64 v[24:25], v[78:79], v[178:179]
	v_add_f64 v[34:35], v[74:75], -v[34:35]
	v_add_f64 v[70:71], v[38:39], v[110:111]
	v_add_f64 v[74:75], v[162:163], v[174:175]
	v_fmac_f64_e32 v[68:69], v[138:139], v[66:67]
	v_fmac_f64_e32 v[10:11], v[132:133], v[86:87]
	;; [unrolled: 1-line block ×3, first 2 shown]
	v_mul_f64 v[14:15], v[14:15], v[100:101]
	v_mul_f64 v[12:13], v[12:13], v[104:105]
	v_add_f64 v[66:67], v[78:79], -v[178:179]
	v_add_f64 v[38:39], v[38:39], -v[110:111]
	;; [unrolled: 1-line block ×3, first 2 shown]
	v_add_f64 v[78:79], v[44:45], v[30:31]
	v_add_f64 v[86:87], v[166:167], v[170:171]
	v_add_f64 v[30:31], v[30:31], -v[44:45]
	v_add_f64 v[44:45], v[170:171], -v[166:167]
	v_add_f64 v[88:89], v[70:71], v[0:1]
	v_add_f64 v[90:91], v[74:75], v[24:25]
	v_fmac_f64_e32 v[18:19], v[136:137], v[94:95]
	v_fmac_f64_e32 v[14:15], v[122:123], v[98:99]
	;; [unrolled: 1-line block ×3, first 2 shown]
	v_add_f64 v[92:93], v[70:71], -v[0:1]
	v_add_f64 v[94:95], v[74:75], -v[24:25]
	;; [unrolled: 1-line block ×6, first 2 shown]
	v_add_f64 v[0:1], v[30:31], v[38:39]
	v_add_f64 v[24:25], v[44:45], v[76:77]
	v_add_f64 v[100:101], v[30:31], -v[38:39]
	v_add_f64 v[102:103], v[44:45], -v[76:77]
	;; [unrolled: 1-line block ×4, first 2 shown]
	v_add_f64 v[78:79], v[78:79], v[88:89]
	v_add_f64 v[86:87], v[86:87], v[90:91]
	v_add_f64 v[30:31], v[34:35], -v[30:31]
	v_add_f64 v[44:45], v[66:67], -v[44:45]
	v_add_f64 v[34:35], v[0:1], v[34:35]
	v_add_f64 v[66:67], v[24:25], v[66:67]
	v_add_f64 v[0:1], v[6:7], v[78:79]
	v_add_f64 v[24:25], v[46:47], v[86:87]
	v_mul_f64 v[6:7], v[96:97], s[4:5]
	v_mul_f64 v[46:47], v[98:99], s[4:5]
	;; [unrolled: 1-line block ×8, first 2 shown]
	v_fma_f64 v[78:79], s[16:17], v[78:79], v[0:1]
	v_fma_f64 v[86:87], s[16:17], v[86:87], v[24:25]
	v_fma_f64 v[88:89], v[92:93], s[18:19], -v[88:89]
	v_fma_f64 v[90:91], v[94:95], s[18:19], -v[90:91]
	;; [unrolled: 1-line block ×3, first 2 shown]
	v_fmac_f64_e32 v[6:7], s[2:3], v[70:71]
	v_fma_f64 v[70:71], v[94:95], s[20:21], -v[46:47]
	v_fmac_f64_e32 v[46:47], s[2:3], v[74:75]
	v_fma_f64 v[38:39], v[38:39], s[12:13], -v[96:97]
	;; [unrolled: 2-line block ×4, first 2 shown]
	v_fma_f64 v[44:45], v[44:45], s[26:27], -v[102:103]
	v_add_f64 v[6:7], v[6:7], v[78:79]
	v_add_f64 v[76:77], v[88:89], v[78:79]
	;; [unrolled: 1-line block ×5, first 2 shown]
	v_fmac_f64_e32 v[38:39], s[24:25], v[34:35]
	v_fmac_f64_e32 v[74:75], s[24:25], v[66:67]
	;; [unrolled: 1-line block ×4, first 2 shown]
	v_add_f64 v[46:47], v[46:47], v[86:87]
	v_add_f64 v[86:87], v[44:45], v[78:79]
	v_add_f64 v[90:91], v[70:71], -v[30:31]
	v_add_f64 v[92:93], v[76:77], -v[74:75]
	v_add_f64 v[94:95], v[38:39], v[88:89]
	v_add_f64 v[74:75], v[74:75], v[76:77]
	v_add_f64 v[76:77], v[88:89], -v[38:39]
	v_add_f64 v[38:39], v[78:79], -v[44:45]
	v_add_f64 v[44:45], v[30:31], v[70:71]
	v_add_f64 v[30:31], v[116:117], v[36:37]
	;; [unrolled: 1-line block ×3, first 2 shown]
	v_add_f64 v[52:53], v[52:53], -v[72:73]
	v_add_f64 v[72:73], v[40:41], v[54:55]
	v_add_f64 v[78:79], v[56:57], v[68:69]
	v_fmac_f64_e32 v[96:97], s[24:25], v[34:35]
	v_fmac_f64_e32 v[98:99], s[24:25], v[66:67]
	v_add_f64 v[36:37], v[116:117], -v[36:37]
	v_add_f64 v[40:41], v[40:41], -v[54:55]
	;; [unrolled: 1-line block ×3, first 2 shown]
	v_add_f64 v[56:57], v[50:51], v[32:33]
	v_add_f64 v[68:69], v[60:61], v[64:65]
	v_add_f64 v[32:33], v[32:33], -v[50:51]
	v_add_f64 v[50:51], v[64:65], -v[60:61]
	v_add_f64 v[60:61], v[72:73], v[30:31]
	v_add_f64 v[64:65], v[78:79], v[70:71]
	;; [unrolled: 1-line block ×3, first 2 shown]
	v_add_f64 v[66:67], v[46:47], -v[96:97]
	v_add_f64 v[6:7], v[6:7], -v[98:99]
	v_add_f64 v[46:47], v[96:97], v[46:47]
	v_add_f64 v[88:89], v[72:73], -v[30:31]
	v_add_f64 v[96:97], v[78:79], -v[70:71]
	;; [unrolled: 1-line block ×6, first 2 shown]
	v_add_f64 v[98:99], v[32:33], v[40:41]
	v_add_f64 v[100:101], v[50:51], v[54:55]
	v_add_f64 v[102:103], v[32:33], -v[40:41]
	v_add_f64 v[104:105], v[50:51], -v[54:55]
	v_add_f64 v[40:41], v[40:41], -v[36:37]
	v_add_f64 v[54:55], v[54:55], -v[52:53]
	v_add_f64 v[56:57], v[56:57], v[60:61]
	v_add_f64 v[60:61], v[68:69], v[64:65]
	v_add_f64 v[32:33], v[36:37], -v[32:33]
	v_add_f64 v[50:51], v[52:53], -v[50:51]
	v_add_f64 v[36:37], v[98:99], v[36:37]
	v_add_f64 v[52:53], v[100:101], v[52:53]
	;; [unrolled: 1-line block ×4, first 2 shown]
	v_mul_f64 v[30:31], v[30:31], s[4:5]
	v_mul_f64 v[64:65], v[70:71], s[4:5]
	v_mul_f64 v[68:69], v[72:73], s[2:3]
	v_mul_f64 v[70:71], v[78:79], s[2:3]
	v_mul_f64 v[98:99], v[102:103], s[14:15]
	v_mul_f64 v[100:101], v[104:105], s[14:15]
	v_mul_f64 v[102:103], v[40:41], s[12:13]
	v_mul_f64 v[104:105], v[54:55], s[12:13]
	v_fma_f64 v[56:57], s[16:17], v[56:57], v[8:9]
	v_fma_f64 v[60:61], s[16:17], v[60:61], v[48:49]
	v_fma_f64 v[68:69], v[88:89], s[18:19], -v[68:69]
	v_fma_f64 v[70:71], v[96:97], s[18:19], -v[70:71]
	;; [unrolled: 1-line block ×3, first 2 shown]
	v_fmac_f64_e32 v[30:31], s[2:3], v[72:73]
	v_fma_f64 v[72:73], v[96:97], s[20:21], -v[64:65]
	v_fmac_f64_e32 v[64:65], s[2:3], v[78:79]
	v_fma_f64 v[40:41], v[40:41], s[12:13], -v[98:99]
	;; [unrolled: 2-line block ×4, first 2 shown]
	v_fma_f64 v[50:51], v[50:51], s[26:27], -v[104:105]
	v_add_f64 v[30:31], v[30:31], v[56:57]
	v_add_f64 v[64:65], v[64:65], v[60:61]
	;; [unrolled: 1-line block ×6, first 2 shown]
	v_fmac_f64_e32 v[40:41], s[24:25], v[36:37]
	v_fmac_f64_e32 v[54:55], s[24:25], v[52:53]
	;; [unrolled: 1-line block ×4, first 2 shown]
	v_add_f64 v[72:73], v[50:51], v[56:57]
	v_add_f64 v[78:79], v[60:61], -v[32:33]
	v_add_f64 v[88:89], v[68:69], -v[54:55]
	v_add_f64 v[96:97], v[40:41], v[70:71]
	v_add_f64 v[54:55], v[54:55], v[68:69]
	v_add_f64 v[68:69], v[70:71], -v[40:41]
	v_add_f64 v[40:41], v[56:57], -v[50:51]
	v_add_f64 v[32:33], v[32:33], v[60:61]
	v_add_f64 v[56:57], v[22:23], v[58:59]
	;; [unrolled: 1-line block ×3, first 2 shown]
	v_add_f64 v[22:23], v[22:23], -v[58:59]
	v_add_f64 v[10:11], v[10:11], -v[62:63]
	v_add_f64 v[58:59], v[20:21], v[28:29]
	v_add_f64 v[62:63], v[4:5], v[12:13]
	v_fmac_f64_e32 v[98:99], s[24:25], v[36:37]
	v_fmac_f64_e32 v[100:101], s[24:25], v[52:53]
	v_add_f64 v[20:21], v[20:21], -v[28:29]
	v_add_f64 v[4:5], v[4:5], -v[12:13]
	v_add_f64 v[12:13], v[16:17], v[26:27]
	v_add_f64 v[28:29], v[18:19], v[14:15]
	v_add_f64 v[16:17], v[26:27], -v[16:17]
	v_add_f64 v[14:15], v[14:15], -v[18:19]
	v_add_f64 v[18:19], v[58:59], v[56:57]
	v_add_f64 v[26:27], v[62:63], v[60:61]
	;; [unrolled: 1-line block ×3, first 2 shown]
	v_add_f64 v[52:53], v[64:65], -v[98:99]
	v_add_f64 v[30:31], v[30:31], -v[100:101]
	v_add_f64 v[50:51], v[98:99], v[64:65]
	v_add_f64 v[64:65], v[58:59], -v[56:57]
	v_add_f64 v[56:57], v[56:57], -v[12:13]
	;; [unrolled: 1-line block ×3, first 2 shown]
	v_add_f64 v[98:99], v[16:17], v[20:21]
	v_add_f64 v[100:101], v[14:15], v[4:5]
	v_add_f64 v[104:105], v[14:15], -v[4:5]
	v_add_f64 v[4:5], v[4:5], -v[10:11]
	v_add_f64 v[12:13], v[12:13], v[18:19]
	v_add_f64 v[18:19], v[28:29], v[26:27]
	v_add_f64 v[70:71], v[62:63], -v[60:61]
	v_add_f64 v[60:61], v[60:61], -v[28:29]
	;; [unrolled: 1-line block ×7, first 2 shown]
	v_add_f64 v[22:23], v[98:99], v[22:23]
	v_add_f64 v[10:11], v[100:101], v[10:11]
	;; [unrolled: 1-line block ×4, first 2 shown]
	v_mul_f64 v[26:27], v[56:57], s[4:5]
	v_mul_f64 v[42:43], v[58:59], s[2:3]
	;; [unrolled: 1-line block ×8, first 2 shown]
	v_fma_f64 v[12:13], s[16:17], v[12:13], v[2:3]
	v_fma_f64 v[58:59], s[2:3], v[58:59], v[26:27]
	v_fma_f64 v[42:43], v[64:65], s[18:19], -v[42:43]
	v_fma_f64 v[26:27], v[64:65], s[20:21], -v[26:27]
	;; [unrolled: 1-line block ×3, first 2 shown]
	v_fmac_f64_e32 v[100:101], s[22:23], v[14:15]
	v_fma_f64 v[14:15], v[14:15], s[26:27], -v[104:105]
	v_fma_f64 v[18:19], s[16:17], v[18:19], v[98:99]
	v_fma_f64 v[56:57], v[70:71], s[18:19], -v[56:57]
	v_fma_f64 v[64:65], v[70:71], s[20:21], -v[28:29]
	v_fmac_f64_e32 v[28:29], s[2:3], v[62:63]
	v_fma_f64 v[62:63], s[22:23], v[16:17], v[60:61]
	v_fma_f64 v[20:21], v[20:21], s[12:13], -v[60:61]
	v_fma_f64 v[16:17], v[16:17], s[26:27], -v[102:103]
	v_add_f64 v[58:59], v[58:59], v[12:13]
	v_add_f64 v[42:43], v[42:43], v[12:13]
	;; [unrolled: 1-line block ×3, first 2 shown]
	v_fmac_f64_e32 v[100:101], s[24:25], v[10:11]
	v_fmac_f64_e32 v[4:5], s[24:25], v[10:11]
	;; [unrolled: 1-line block ×3, first 2 shown]
	ds_write2_b64 v183, v[0:1], v[34:35] offset1:52
	ds_write2_b64 v183, v[86:87], v[92:93] offset0:104 offset1:156
	ds_write2_b64 v82, v[74:75], v[38:39] offset0:80 offset1:132
	;; [unrolled: 1-line block ×6, first 2 shown]
	v_lshl_add_u32 v34, v85, 3, 0
	v_add_f64 v[28:29], v[28:29], v[18:19]
	v_add_f64 v[56:57], v[56:57], v[18:19]
	;; [unrolled: 1-line block ×3, first 2 shown]
	v_fmac_f64_e32 v[62:63], s[24:25], v[22:23]
	v_fmac_f64_e32 v[20:21], s[24:25], v[22:23]
	;; [unrolled: 1-line block ×3, first 2 shown]
	v_add_f64 v[10:11], v[100:101], v[58:59]
	v_add_f64 v[22:23], v[14:15], v[12:13]
	v_add_f64 v[26:27], v[42:43], -v[4:5]
	v_add_f64 v[4:5], v[4:5], v[42:43]
	v_add_f64 v[12:13], v[12:13], -v[14:15]
	v_add_f64 v[14:15], v[58:59], -v[100:101]
	v_add_u32_e32 v35, 0x1400, v34
	v_add_u32_e32 v54, 0x1800, v34
	v_add_f64 v[60:61], v[28:29], -v[62:63]
	v_add_f64 v[64:65], v[18:19], -v[16:17]
	v_add_f64 v[70:71], v[20:21], v[56:57]
	v_add_f64 v[102:103], v[56:57], -v[20:21]
	v_add_f64 v[104:105], v[16:17], v[18:19]
	v_add_f64 v[62:63], v[62:63], v[28:29]
	ds_write2_b64 v35, v[2:3], v[10:11] offset0:88 offset1:140
	ds_write2_b64 v54, v[22:23], v[26:27] offset0:64 offset1:116
	ds_write2_b64 v54, v[4:5], v[12:13] offset0:168 offset1:220
	ds_write_b64 v34, v[14:15] offset:8320
	s_waitcnt lgkmcnt(0)
	; wave barrier
	s_waitcnt lgkmcnt(0)
	ds_read2_b64 v[0:3], v183 offset1:52
	ds_read2_b64 v[8:11], v80 offset0:56 offset1:108
	ds_read2_b64 v[4:7], v84 offset0:88 offset1:140
	;; [unrolled: 1-line block ×9, first 2 shown]
	ds_read_b64 v[26:27], v183 offset:8320
	s_waitcnt lgkmcnt(0)
	; wave barrier
	s_waitcnt lgkmcnt(0)
	ds_write2_b64 v183, v[24:25], v[66:67] offset1:52
	ds_write2_b64 v183, v[90:91], v[94:95] offset0:104 offset1:156
	ds_write2_b64 v82, v[76:77], v[44:45] offset0:80 offset1:132
	;; [unrolled: 1-line block ×9, first 2 shown]
	ds_write_b64 v34, v[62:63] offset:8320
	s_waitcnt lgkmcnt(0)
	; wave barrier
	s_waitcnt lgkmcnt(0)
	s_and_saveexec_b64 s[2:3], s[0:1]
	s_cbranch_execz .LBB0_37
; %bb.36:
	v_mov_b32_e32 v149, 0
	v_lshl_add_u64 v[24:25], v[148:149], 4, s[8:9]
	s_mov_b64 s[0:1], 0x16a0
	v_lshl_add_u64 v[48:49], v[24:25], 0, s[0:1]
	v_add_co_u32_e32 v24, vcc, 0x1000, v24
	v_mov_b32_e32 v161, v149
	s_nop 0
	v_addc_co_u32_e32 v25, vcc, 0, v25, vcc
	s_movk_i32 s12, 0x1000
	global_load_dwordx4 v[32:35], v[24:25], off offset:1696
	global_load_dwordx4 v[44:47], v[48:49], off offset:16
	v_lshl_add_u64 v[24:25], v[160:161], 4, s[8:9]
	v_lshl_add_u64 v[60:61], v[24:25], 0, s[0:1]
	v_add_co_u32_e32 v24, vcc, s12, v24
	v_mov_b32_e32 v159, v149
	s_nop 0
	v_addc_co_u32_e32 v25, vcc, 0, v25, vcc
	global_load_dwordx4 v[48:51], v[24:25], off offset:1696
	global_load_dwordx4 v[52:55], v[60:61], off offset:16
	v_lshl_add_u64 v[24:25], v[158:159], 4, s[8:9]
	v_add_co_u32_e32 v60, vcc, s12, v24
	v_mul_lo_u32 v62, s11, v146
	s_nop 0
	v_addc_co_u32_e32 v61, vcc, 0, v25, vcc
	global_load_dwordx4 v[64:67], v[60:61], off offset:1696
	v_lshl_add_u64 v[24:25], v[24:25], 0, s[0:1]
	global_load_dwordx4 v[76:79], v[24:25], off offset:16
	v_mul_lo_u32 v63, s10, v147
	v_mad_u64_u32 v[84:85], s[2:3], s10, v146, 0
	v_add_u32_e32 v108, 0x1000, v183
	ds_read_b64 v[24:25], v183 offset:8320
	v_add_u32_e32 v116, 0x800, v183
	v_add_u32_e32 v109, 0x1800, v183
	;; [unrolled: 1-line block ×3, first 2 shown]
	v_add3_u32 v85, v85, v63, v62
	ds_read2_b64 v[86:89], v108 offset0:112 offset1:164
	ds_read2_b64 v[60:63], v116 offset0:56 offset1:108
	v_mov_b32_e32 v157, v149
	ds_read2_b64 v[90:93], v109 offset0:168 offset1:220
	ds_read2_b64 v[80:83], v68 offset0:80 offset1:132
	v_lshl_add_u64 v[68:69], v[156:157], 4, s[8:9]
	v_add_co_u32_e32 v96, vcc, s12, v68
	v_lshl_add_u64 v[94:95], v[68:69], 0, s[0:1]
	s_nop 0
	v_addc_co_u32_e32 v97, vcc, 0, v69, vcc
	global_load_dwordx4 v[68:71], v[96:97], off offset:1696
	global_load_dwordx4 v[72:75], v[94:95], off offset:16
	v_mov_b32_e32 v155, v149
	s_mov_b32 s2, 0xe8584caa
	s_mov_b32 s3, 0x3febb67a
	;; [unrolled: 1-line block ×4, first 2 shown]
	v_mov_b32_e32 v153, v149
	v_mov_b32_e32 v151, v149
	ds_read2_b64 v[112:115], v183 offset0:104 offset1:156
	s_waitcnt vmcnt(7) lgkmcnt(4)
	v_mul_f64 v[94:95], v[34:35], v[88:89]
	s_waitcnt vmcnt(6)
	v_mul_f64 v[96:97], v[46:47], v[24:25]
	v_mul_f64 v[88:89], v[32:33], v[88:89]
	;; [unrolled: 1-line block ×3, first 2 shown]
	v_fma_f64 v[32:33], v[22:23], v[32:33], -v[94:95]
	v_fma_f64 v[44:45], v[26:27], v[44:45], -v[96:97]
	v_fmac_f64_e32 v[88:89], v[22:23], v[34:35]
	v_fmac_f64_e32 v[24:25], v[26:27], v[46:47]
	s_waitcnt vmcnt(5)
	v_mul_f64 v[102:103], v[48:49], v[86:87]
	s_waitcnt vmcnt(4) lgkmcnt(2)
	v_mul_f64 v[104:105], v[52:53], v[92:93]
	v_mul_f64 v[98:99], v[50:51], v[86:87]
	v_fmac_f64_e32 v[102:103], v[20:21], v[50:51]
	v_fmac_f64_e32 v[104:105], v[58:59], v[54:55]
	v_add_f64 v[34:35], v[88:89], v[60:61]
	v_add_f64 v[46:47], v[32:33], v[44:45]
	v_fma_f64 v[106:107], v[20:21], v[48:49], -v[98:99]
	v_add_f64 v[20:21], v[32:33], -v[44:45]
	v_add_f64 v[22:23], v[88:89], v[24:25]
	v_add_f64 v[48:49], v[88:89], -v[24:25]
	v_add_f64 v[32:33], v[8:9], v[32:33]
	v_add_f64 v[34:35], v[24:25], v[34:35]
	v_fma_f64 v[24:25], -0.5, v[46:47], v[8:9]
	v_add_f64 v[8:9], v[102:103], v[104:105]
	s_waitcnt lgkmcnt(1)
	v_fma_f64 v[46:47], -0.5, v[8:9], v[82:83]
	v_lshl_add_u64 v[8:9], v[154:155], 4, s[8:9]
	v_add_f64 v[32:33], v[32:33], v[44:45]
	v_add_co_u32_e32 v44, vcc, s12, v8
	v_mul_f64 v[100:101], v[54:55], v[92:93]
	s_nop 0
	v_addc_co_u32_e32 v45, vcc, 0, v9, vcc
	global_load_dwordx4 v[86:89], v[44:45], off offset:1696
	v_lshl_add_u64 v[8:9], v[8:9], 0, s[0:1]
	global_load_dwordx4 v[92:95], v[8:9], off offset:16
	v_fma_f64 v[52:53], v[58:59], v[52:53], -v[100:101]
	ds_read2_b64 v[96:99], v108 offset0:8 offset1:60
	v_add_f64 v[54:55], v[106:107], -v[52:53]
	v_add_f64 v[8:9], v[102:103], v[82:83]
	v_fma_f64 v[50:51], s[2:3], v[54:55], v[46:47]
	v_fmac_f64_e32 v[46:47], s[4:5], v[54:55]
	v_add_f64 v[54:55], v[104:105], v[8:9]
	v_add_f64 v[8:9], v[106:107], v[52:53]
	v_fma_f64 v[26:27], -0.5, v[22:23], v[60:61]
	v_fma_f64 v[44:45], -0.5, v[8:9], v[42:43]
	v_add_f64 v[8:9], v[102:103], -v[104:105]
	v_lshl_add_u64 v[58:59], v[152:153], 4, s[8:9]
	v_fma_f64 v[22:23], s[2:3], v[20:21], v[26:27]
	v_fmac_f64_e32 v[26:27], s[4:5], v[20:21]
	v_fma_f64 v[20:21], s[4:5], v[48:49], v[24:25]
	v_fmac_f64_e32 v[24:25], s[2:3], v[48:49]
	v_fma_f64 v[48:49], s[4:5], v[8:9], v[44:45]
	v_fmac_f64_e32 v[44:45], s[2:3], v[8:9]
	v_add_f64 v[8:9], v[42:43], v[106:107]
	v_add_co_u32_e32 v60, vcc, s12, v58
	v_add_f64 v[52:53], v[8:9], v[52:53]
	s_waitcnt vmcnt(5) lgkmcnt(0)
	v_mul_f64 v[8:9], v[66:67], v[98:99]
	v_addc_co_u32_e32 v61, vcc, 0, v59, vcc
	v_mul_f64 v[98:99], v[64:65], v[98:99]
	v_fma_f64 v[8:9], v[38:39], v[64:65], -v[8:9]
	global_load_dwordx4 v[100:103], v[60:61], off offset:1696
	v_lshl_add_u64 v[58:59], v[58:59], 0, s[0:1]
	global_load_dwordx4 v[104:107], v[58:59], off offset:16
	v_fmac_f64_e32 v[98:99], v[38:39], v[66:67]
	s_waitcnt vmcnt(6)
	v_mul_f64 v[38:39], v[76:77], v[90:91]
	v_mul_f64 v[42:43], v[78:79], v[90:91]
	v_fmac_f64_e32 v[38:39], v[56:57], v[78:79]
	v_fma_f64 v[60:61], v[56:57], v[76:77], -v[42:43]
	v_add_f64 v[56:57], v[98:99], v[38:39]
	v_fma_f64 v[66:67], -0.5, v[56:57], v[80:81]
	v_add_f64 v[56:57], v[8:9], v[60:61]
	v_fma_f64 v[64:65], -0.5, v[56:57], v[40:41]
	v_lshl_add_u64 v[56:57], v[150:151], 4, s[8:9]
	v_add_co_u32_e32 v76, vcc, s12, v56
	v_add_f64 v[42:43], v[8:9], -v[60:61]
	s_nop 0
	v_addc_co_u32_e32 v77, vcc, 0, v57, vcc
	global_load_dwordx4 v[76:79], v[76:77], off offset:1696
	v_lshl_add_u64 v[56:57], v[56:57], 0, s[0:1]
	v_fma_f64 v[58:59], s[2:3], v[42:43], v[66:67]
	v_fmac_f64_e32 v[66:67], s[4:5], v[42:43]
	v_add_f64 v[42:43], v[98:99], v[80:81]
	global_load_dwordx4 v[80:83], v[56:57], off offset:16
	ds_read2_b64 v[108:111], v109 offset0:64 offset1:116
	v_add_f64 v[42:43], v[38:39], v[42:43]
	v_add_f64 v[38:39], v[98:99], -v[38:39]
	v_add_f64 v[8:9], v[40:41], v[8:9]
	v_fma_f64 v[56:57], s[4:5], v[38:39], v[64:65]
	v_fmac_f64_e32 v[64:65], s[2:3], v[38:39]
	v_add_f64 v[40:41], v[8:9], v[60:61]
	s_waitcnt vmcnt(7)
	v_mul_f64 v[8:9], v[70:71], v[96:97]
	s_waitcnt vmcnt(6) lgkmcnt(0)
	v_mul_f64 v[38:39], v[74:75], v[110:111]
	v_fma_f64 v[8:9], v[36:37], v[68:69], -v[8:9]
	v_fma_f64 v[60:61], v[30:31], v[72:73], -v[38:39]
	v_mul_f64 v[68:69], v[68:69], v[96:97]
	v_mul_f64 v[72:73], v[72:73], v[110:111]
	ds_read2_b64 v[96:99], v116 offset0:160 offset1:212
	v_fmac_f64_e32 v[68:69], v[36:37], v[70:71]
	v_fmac_f64_e32 v[72:73], v[30:31], v[74:75]
	v_add_f64 v[30:31], v[68:69], v[72:73]
	v_fma_f64 v[38:39], -0.5, v[30:31], v[114:115]
	v_add_f64 v[30:31], v[68:69], v[114:115]
	v_add_f64 v[90:91], v[8:9], -v[60:61]
	v_add_f64 v[74:75], v[72:73], v[30:31]
	v_add_f64 v[30:31], v[8:9], v[60:61]
	;; [unrolled: 1-line block ×3, first 2 shown]
	v_fma_f64 v[36:37], -0.5, v[30:31], v[18:19]
	v_add_f64 v[30:31], v[68:69], -v[72:73]
	v_add_f64 v[72:73], v[8:9], v[60:61]
	s_waitcnt vmcnt(5) lgkmcnt(0)
	v_mul_f64 v[8:9], v[88:89], v[98:99]
	v_fma_f64 v[8:9], v[14:15], v[86:87], -v[8:9]
	v_mul_f64 v[86:87], v[86:87], v[98:99]
	v_fmac_f64_e32 v[86:87], v[14:15], v[88:89]
	s_waitcnt vmcnt(4)
	v_mul_f64 v[14:15], v[92:93], v[108:109]
	v_mul_f64 v[18:19], v[94:95], v[108:109]
	v_fmac_f64_e32 v[14:15], v[28:29], v[94:95]
	v_fma_f64 v[60:61], v[28:29], v[92:93], -v[18:19]
	v_add_f64 v[28:29], v[86:87], v[14:15]
	v_fma_f64 v[68:69], s[4:5], v[30:31], v[36:37]
	v_fmac_f64_e32 v[36:37], s[2:3], v[30:31]
	v_add_f64 v[18:19], v[8:9], -v[60:61]
	v_fma_f64 v[30:31], -0.5, v[28:29], v[112:113]
	v_fma_f64 v[88:89], s[2:3], v[18:19], v[30:31]
	v_fmac_f64_e32 v[30:31], s[4:5], v[18:19]
	v_add_f64 v[18:19], v[86:87], v[112:113]
	v_add_f64 v[28:29], v[8:9], v[60:61]
	;; [unrolled: 1-line block ×3, first 2 shown]
	v_fma_f64 v[28:29], -0.5, v[28:29], v[16:17]
	v_add_f64 v[14:15], v[86:87], -v[14:15]
	v_fma_f64 v[86:87], s[4:5], v[14:15], v[28:29]
	v_fmac_f64_e32 v[28:29], s[2:3], v[14:15]
	v_add_u32_e32 v14, 0x1400, v183
	v_fma_f64 v[70:71], s[2:3], v[90:91], v[38:39]
	v_fmac_f64_e32 v[38:39], s[4:5], v[90:91]
	ds_read2_b64 v[90:93], v14 offset0:88 offset1:140
	v_add_f64 v[8:9], v[16:17], v[8:9]
	ds_read2_b64 v[108:111], v183 offset1:52
	v_add_f64 v[16:17], v[8:9], v[60:61]
	s_mov_b32 s0, 0x5a05a05b
	s_waitcnt vmcnt(3)
	v_mul_f64 v[8:9], v[102:103], v[96:97]
	v_mul_f64 v[96:97], v[100:101], v[96:97]
	v_fma_f64 v[60:61], v[12:13], v[100:101], -v[8:9]
	v_fmac_f64_e32 v[96:97], v[12:13], v[102:103]
	s_waitcnt vmcnt(2) lgkmcnt(1)
	v_mul_f64 v[12:13], v[104:105], v[92:93]
	v_mul_f64 v[8:9], v[106:107], v[92:93]
	v_fmac_f64_e32 v[12:13], v[6:7], v[106:107]
	v_fma_f64 v[98:99], v[6:7], v[104:105], -v[8:9]
	v_add_f64 v[6:7], v[96:97], v[12:13]
	v_add_f64 v[94:95], v[60:61], -v[98:99]
	s_waitcnt lgkmcnt(0)
	v_fma_f64 v[8:9], -0.5, v[6:7], v[110:111]
	v_add_f64 v[6:7], v[96:97], v[110:111]
	v_fma_f64 v[14:15], s[2:3], v[94:95], v[8:9]
	v_fmac_f64_e32 v[8:9], s[4:5], v[94:95]
	v_add_f64 v[94:95], v[12:13], v[6:7]
	v_add_f64 v[6:7], v[60:61], v[98:99]
	v_fma_f64 v[6:7], -0.5, v[6:7], v[2:3]
	v_add_f64 v[92:93], v[96:97], -v[12:13]
	v_add_f64 v[2:3], v[2:3], v[60:61]
	v_fma_f64 v[12:13], s[4:5], v[92:93], v[6:7]
	v_fmac_f64_e32 v[6:7], s[2:3], v[92:93]
	v_add_f64 v[92:93], v[2:3], v[98:99]
	s_waitcnt vmcnt(1)
	v_mul_f64 v[2:3], v[78:79], v[62:63]
	v_mul_f64 v[60:61], v[76:77], v[62:63]
	v_fma_f64 v[96:97], v[10:11], v[76:77], -v[2:3]
	v_fmac_f64_e32 v[60:61], v[10:11], v[78:79]
	s_waitcnt vmcnt(0)
	v_mul_f64 v[10:11], v[80:81], v[90:91]
	v_mul_f64 v[2:3], v[82:83], v[90:91]
	v_fmac_f64_e32 v[10:11], v[4:5], v[82:83]
	v_fma_f64 v[98:99], v[4:5], v[80:81], -v[2:3]
	v_add_f64 v[4:5], v[60:61], v[10:11]
	v_add_f64 v[2:3], v[96:97], -v[98:99]
	v_fma_f64 v[4:5], -0.5, v[4:5], v[108:109]
	v_fma_f64 v[62:63], s[2:3], v[2:3], v[4:5]
	v_fmac_f64_e32 v[4:5], s[4:5], v[2:3]
	v_add_f64 v[2:3], v[60:61], v[108:109]
	v_add_f64 v[78:79], v[10:11], v[2:3]
	;; [unrolled: 1-line block ×3, first 2 shown]
	v_fma_f64 v[2:3], -0.5, v[2:3], v[0:1]
	v_add_f64 v[0:1], v[0:1], v[96:97]
	v_add_f64 v[76:77], v[0:1], v[98:99]
	v_lshrrev_b32_e32 v0, 2, v182
	v_mul_hi_u32 v0, v0, s0
	v_lshrrev_b32_e32 v0, 5, v0
	v_add_f64 v[10:11], v[60:61], -v[10:11]
	v_mul_u32_u24_e32 v0, 0x16c, v0
	v_fma_f64 v[60:61], s[4:5], v[10:11], v[2:3]
	v_fmac_f64_e32 v[2:3], s[2:3], v[10:11]
	v_sub_u32_e32 v10, v182, v0
	v_lshl_add_u64 v[0:1], v[84:85], 4, s[6:7]
	v_lshl_add_u64 v[0:1], v[144:145], 4, v[0:1]
	v_lshlrev_b32_e32 v148, 4, v10
	v_lshl_add_u64 v[10:11], v[0:1], 0, v[148:149]
	global_store_dwordx4 v[10:11], v[76:79], off
	s_movk_i32 s1, 0x2000
	s_nop 0
	v_add_co_u32_e32 v76, vcc, s12, v10
	s_nop 1
	v_addc_co_u32_e32 v77, vcc, 0, v11, vcc
	global_store_dwordx4 v[76:77], v[2:5], off offset:1728
	s_nop 1
	v_add_co_u32_e32 v2, vcc, s1, v10
	s_movk_i32 s1, 0x444
	s_nop 0
	v_addc_co_u32_e32 v3, vcc, 0, v11, vcc
	global_store_dwordx4 v[2:3], v[60:63], off offset:3456
	v_add_u32_e32 v2, 52, v182
	v_lshrrev_b32_e32 v3, 2, v2
	v_mul_hi_u32 v3, v3, s0
	v_lshrrev_b32_e32 v3, 5, v3
	v_mul_u32_u24_e32 v4, 0x16c, v3
	v_sub_u32_e32 v2, v2, v4
	v_mad_u32_u24 v148, v3, s1, v2
	v_lshl_add_u64 v[2:3], v[148:149], 4, v[0:1]
	global_store_dwordx4 v[2:3], v[92:95], off
	v_add_u32_e32 v2, 0x16c, v148
	v_mov_b32_e32 v3, v149
	v_lshl_add_u64 v[2:3], v[2:3], 4, v[0:1]
	v_add_u32_e32 v148, 0x2d8, v148
	global_store_dwordx4 v[2:3], v[6:9], off
	v_lshl_add_u64 v[2:3], v[148:149], 4, v[0:1]
	global_store_dwordx4 v[2:3], v[12:15], off
	v_add_u32_e32 v2, 0x68, v182
	v_lshrrev_b32_e32 v3, 2, v2
	v_mul_hi_u32 v3, v3, s0
	v_lshrrev_b32_e32 v3, 5, v3
	v_mul_u32_u24_e32 v4, 0x16c, v3
	v_sub_u32_e32 v2, v2, v4
	v_mad_u32_u24 v148, v3, s1, v2
	v_lshl_add_u64 v[2:3], v[148:149], 4, v[0:1]
	global_store_dwordx4 v[2:3], v[16:19], off
	v_add_u32_e32 v2, 0x16c, v148
	v_mov_b32_e32 v3, v149
	v_lshl_add_u64 v[2:3], v[2:3], 4, v[0:1]
	v_add_u32_e32 v148, 0x2d8, v148
	global_store_dwordx4 v[2:3], v[28:31], off
	v_lshl_add_u64 v[2:3], v[148:149], 4, v[0:1]
	global_store_dwordx4 v[2:3], v[86:89], off
	;; [unrolled: 16-line block ×5, first 2 shown]
	v_add_u32_e32 v2, 0x138, v182
	v_lshrrev_b32_e32 v3, 2, v2
	v_mul_hi_u32 v3, v3, s0
	v_lshrrev_b32_e32 v3, 5, v3
	v_mul_u32_u24_e32 v4, 0x16c, v3
	v_sub_u32_e32 v2, v2, v4
	v_mad_u32_u24 v148, v3, s1, v2
	v_lshl_add_u64 v[2:3], v[148:149], 4, v[0:1]
	global_store_dwordx4 v[2:3], v[32:35], off
	v_add_u32_e32 v2, 0x16c, v148
	v_mov_b32_e32 v3, v149
	v_add_u32_e32 v148, 0x2d8, v148
	v_lshl_add_u64 v[2:3], v[2:3], 4, v[0:1]
	v_lshl_add_u64 v[0:1], v[148:149], 4, v[0:1]
	global_store_dwordx4 v[2:3], v[24:27], off
	global_store_dwordx4 v[0:1], v[20:23], off
.LBB0_37:
	s_endpgm
	.section	.rodata,"a",@progbits
	.p2align	6, 0x0
	.amdhsa_kernel fft_rtc_fwd_len1092_factors_2_2_13_7_3_wgs_52_tpt_52_halfLds_dp_op_CI_CI_unitstride_sbrr_dirReg
		.amdhsa_group_segment_fixed_size 0
		.amdhsa_private_segment_fixed_size 0
		.amdhsa_kernarg_size 104
		.amdhsa_user_sgpr_count 2
		.amdhsa_user_sgpr_dispatch_ptr 0
		.amdhsa_user_sgpr_queue_ptr 0
		.amdhsa_user_sgpr_kernarg_segment_ptr 1
		.amdhsa_user_sgpr_dispatch_id 0
		.amdhsa_user_sgpr_kernarg_preload_length 0
		.amdhsa_user_sgpr_kernarg_preload_offset 0
		.amdhsa_user_sgpr_private_segment_size 0
		.amdhsa_uses_dynamic_stack 0
		.amdhsa_enable_private_segment 0
		.amdhsa_system_sgpr_workgroup_id_x 1
		.amdhsa_system_sgpr_workgroup_id_y 0
		.amdhsa_system_sgpr_workgroup_id_z 0
		.amdhsa_system_sgpr_workgroup_info 0
		.amdhsa_system_vgpr_workitem_id 0
		.amdhsa_next_free_vgpr 234
		.amdhsa_next_free_sgpr 48
		.amdhsa_accum_offset 236
		.amdhsa_reserve_vcc 1
		.amdhsa_float_round_mode_32 0
		.amdhsa_float_round_mode_16_64 0
		.amdhsa_float_denorm_mode_32 3
		.amdhsa_float_denorm_mode_16_64 3
		.amdhsa_dx10_clamp 1
		.amdhsa_ieee_mode 1
		.amdhsa_fp16_overflow 0
		.amdhsa_tg_split 0
		.amdhsa_exception_fp_ieee_invalid_op 0
		.amdhsa_exception_fp_denorm_src 0
		.amdhsa_exception_fp_ieee_div_zero 0
		.amdhsa_exception_fp_ieee_overflow 0
		.amdhsa_exception_fp_ieee_underflow 0
		.amdhsa_exception_fp_ieee_inexact 0
		.amdhsa_exception_int_div_zero 0
	.end_amdhsa_kernel
	.text
.Lfunc_end0:
	.size	fft_rtc_fwd_len1092_factors_2_2_13_7_3_wgs_52_tpt_52_halfLds_dp_op_CI_CI_unitstride_sbrr_dirReg, .Lfunc_end0-fft_rtc_fwd_len1092_factors_2_2_13_7_3_wgs_52_tpt_52_halfLds_dp_op_CI_CI_unitstride_sbrr_dirReg
                                        ; -- End function
	.section	.AMDGPU.csdata,"",@progbits
; Kernel info:
; codeLenInByte = 17944
; NumSgprs: 54
; NumVgprs: 234
; NumAgprs: 0
; TotalNumVgprs: 234
; ScratchSize: 0
; MemoryBound: 1
; FloatMode: 240
; IeeeMode: 1
; LDSByteSize: 0 bytes/workgroup (compile time only)
; SGPRBlocks: 6
; VGPRBlocks: 29
; NumSGPRsForWavesPerEU: 54
; NumVGPRsForWavesPerEU: 234
; AccumOffset: 236
; Occupancy: 2
; WaveLimiterHint : 1
; COMPUTE_PGM_RSRC2:SCRATCH_EN: 0
; COMPUTE_PGM_RSRC2:USER_SGPR: 2
; COMPUTE_PGM_RSRC2:TRAP_HANDLER: 0
; COMPUTE_PGM_RSRC2:TGID_X_EN: 1
; COMPUTE_PGM_RSRC2:TGID_Y_EN: 0
; COMPUTE_PGM_RSRC2:TGID_Z_EN: 0
; COMPUTE_PGM_RSRC2:TIDIG_COMP_CNT: 0
; COMPUTE_PGM_RSRC3_GFX90A:ACCUM_OFFSET: 58
; COMPUTE_PGM_RSRC3_GFX90A:TG_SPLIT: 0
	.text
	.p2alignl 6, 3212836864
	.fill 256, 4, 3212836864
	.type	__hip_cuid_1fd752e87f89e47f,@object ; @__hip_cuid_1fd752e87f89e47f
	.section	.bss,"aw",@nobits
	.globl	__hip_cuid_1fd752e87f89e47f
__hip_cuid_1fd752e87f89e47f:
	.byte	0                               ; 0x0
	.size	__hip_cuid_1fd752e87f89e47f, 1

	.ident	"AMD clang version 19.0.0git (https://github.com/RadeonOpenCompute/llvm-project roc-6.4.0 25133 c7fe45cf4b819c5991fe208aaa96edf142730f1d)"
	.section	".note.GNU-stack","",@progbits
	.addrsig
	.addrsig_sym __hip_cuid_1fd752e87f89e47f
	.amdgpu_metadata
---
amdhsa.kernels:
  - .agpr_count:     0
    .args:
      - .actual_access:  read_only
        .address_space:  global
        .offset:         0
        .size:           8
        .value_kind:     global_buffer
      - .offset:         8
        .size:           8
        .value_kind:     by_value
      - .actual_access:  read_only
        .address_space:  global
        .offset:         16
        .size:           8
        .value_kind:     global_buffer
      - .actual_access:  read_only
        .address_space:  global
        .offset:         24
        .size:           8
        .value_kind:     global_buffer
      - .actual_access:  read_only
        .address_space:  global
        .offset:         32
        .size:           8
        .value_kind:     global_buffer
      - .offset:         40
        .size:           8
        .value_kind:     by_value
      - .actual_access:  read_only
        .address_space:  global
        .offset:         48
        .size:           8
        .value_kind:     global_buffer
      - .actual_access:  read_only
        .address_space:  global
        .offset:         56
        .size:           8
        .value_kind:     global_buffer
      - .offset:         64
        .size:           4
        .value_kind:     by_value
      - .actual_access:  read_only
        .address_space:  global
        .offset:         72
        .size:           8
        .value_kind:     global_buffer
      - .actual_access:  read_only
        .address_space:  global
        .offset:         80
        .size:           8
        .value_kind:     global_buffer
      - .actual_access:  read_only
        .address_space:  global
        .offset:         88
        .size:           8
        .value_kind:     global_buffer
      - .actual_access:  write_only
        .address_space:  global
        .offset:         96
        .size:           8
        .value_kind:     global_buffer
    .group_segment_fixed_size: 0
    .kernarg_segment_align: 8
    .kernarg_segment_size: 104
    .language:       OpenCL C
    .language_version:
      - 2
      - 0
    .max_flat_workgroup_size: 52
    .name:           fft_rtc_fwd_len1092_factors_2_2_13_7_3_wgs_52_tpt_52_halfLds_dp_op_CI_CI_unitstride_sbrr_dirReg
    .private_segment_fixed_size: 0
    .sgpr_count:     54
    .sgpr_spill_count: 0
    .symbol:         fft_rtc_fwd_len1092_factors_2_2_13_7_3_wgs_52_tpt_52_halfLds_dp_op_CI_CI_unitstride_sbrr_dirReg.kd
    .uniform_work_group_size: 1
    .uses_dynamic_stack: false
    .vgpr_count:     234
    .vgpr_spill_count: 0
    .wavefront_size: 64
amdhsa.target:   amdgcn-amd-amdhsa--gfx950
amdhsa.version:
  - 1
  - 2
...

	.end_amdgpu_metadata
